;; amdgpu-corpus repo=pytorch/pytorch kind=compiled arch=gfx950 opt=O3
	.amdgcn_target "amdgcn-amd-amdhsa--gfx950"
	.amdhsa_code_object_version 6
	.section	.text._ZN2at6native12_GLOBAL__N_116_elemwise_kernelILi256ELi4EZNS1_43_compute_linear_combination_internal_kernelIhEEvRNS_14TensorIteratorEiiiEUliE_EEviT1_,"axG",@progbits,_ZN2at6native12_GLOBAL__N_116_elemwise_kernelILi256ELi4EZNS1_43_compute_linear_combination_internal_kernelIhEEvRNS_14TensorIteratorEiiiEUliE_EEviT1_,comdat
	.globl	_ZN2at6native12_GLOBAL__N_116_elemwise_kernelILi256ELi4EZNS1_43_compute_linear_combination_internal_kernelIhEEvRNS_14TensorIteratorEiiiEUliE_EEviT1_ ; -- Begin function _ZN2at6native12_GLOBAL__N_116_elemwise_kernelILi256ELi4EZNS1_43_compute_linear_combination_internal_kernelIhEEvRNS_14TensorIteratorEiiiEUliE_EEviT1_
	.p2align	8
	.type	_ZN2at6native12_GLOBAL__N_116_elemwise_kernelILi256ELi4EZNS1_43_compute_linear_combination_internal_kernelIhEEvRNS_14TensorIteratorEiiiEUliE_EEviT1_,@function
_ZN2at6native12_GLOBAL__N_116_elemwise_kernelILi256ELi4EZNS1_43_compute_linear_combination_internal_kernelIhEEvRNS_14TensorIteratorEiiiEUliE_EEviT1_: ; @_ZN2at6native12_GLOBAL__N_116_elemwise_kernelILi256ELi4EZNS1_43_compute_linear_combination_internal_kernelIhEEvRNS_14TensorIteratorEiiiEUliE_EEviT1_
; %bb.0:
	s_load_dword s66, s[0:1], 0x0
	s_load_dwordx8 s[4:11], s[0:1], 0x8
	s_load_dwordx4 s[40:43], s[0:1], 0xcc
	s_load_dwordx2 s[54:55], s[0:1], 0xdc
	s_load_dwordx4 s[28:31], s[0:1], 0x1a8
	v_lshl_or_b32 v8, s2, 10, v0
	s_waitcnt lgkmcnt(0)
	s_add_u32 s11, s0, 8
	s_load_dwordx2 s[34:35], s[0:1], 0x1a0
	s_load_dwordx4 s[36:39], s[0:1], 0x190
	v_sub_co_u32_e64 v0, s[2:3], s4, 1
	s_nop 0
	v_readfirstlane_b32 s64, v0
	s_addc_u32 s33, s1, 0
	s_xor_b64 s[2:3], s[2:3], -1
	s_or_b32 s58, s0, 12
	s_min_u32 s65, s64, 15
	s_mov_b32 s59, s1
	s_cmp_gt_u32 s4, 1
	v_cmp_lt_u32_e64 s[0:1], 1, v0
	s_cselect_b64 s[56:57], -1, 0
	s_cmp_gt_i32 s28, 0
	v_cndmask_b32_e64 v0, 0, 1, s[0:1]
	s_mov_b64 s[12:13], -1
	s_cselect_b64 s[52:53], -1, 0
	v_cmp_gt_i32_e32 vcc, s66, v8
	v_cmp_ne_u32_e64 s[0:1], 1, v0
	s_and_saveexec_b64 s[60:61], vcc
	s_cbranch_execnz .LBB0_4
; %bb.1:
	s_or_b64 exec, exec, s[60:61]
	v_cmp_gt_i32_e32 vcc, s66, v8
	s_and_saveexec_b64 s[60:61], vcc
	s_cbranch_execnz .LBB0_21
.LBB0_2:
	s_or_b64 exec, exec, s[60:61]
	v_cmp_gt_i32_e32 vcc, s66, v8
	s_and_saveexec_b64 s[60:61], vcc
	s_cbranch_execnz .LBB0_38
.LBB0_3:
	s_or_b64 exec, exec, s[60:61]
	v_cmp_gt_i32_e32 vcc, s66, v8
	s_and_saveexec_b64 s[12:13], vcc
	s_cbranch_execnz .LBB0_55
	s_branch .LBB0_71
.LBB0_4:
	s_and_b64 vcc, exec, s[0:1]
                                        ; implicit-def: $vgpr4
                                        ; implicit-def: $vgpr2
                                        ; implicit-def: $vgpr0
	s_cbranch_vccnz .LBB0_14
; %bb.5:
	v_mov_b32_e32 v4, 0
	s_andn2_b64 vcc, exec, s[2:3]
	v_mov_b32_e32 v2, 0
	v_mov_b32_e32 v0, 0
	s_cbranch_vccnz .LBB0_13
; %bb.6:
	s_add_i32 s31, s65, 1
	s_cmp_eq_u32 s64, 2
	s_cbranch_scc1 .LBB0_10
; %bb.7:
	s_and_b32 s4, s31, 28
	v_mov_b32_e32 v0, 0
	s_mov_b32 s67, 0
	s_mov_b64 s[62:63], s[58:59]
	v_mov_b32_e32 v6, v8
	v_mov_b32_e32 v2, 0
	;; [unrolled: 1-line block ×3, first 2 shown]
.LBB0_8:                                ; =>This Inner Loop Header: Depth=1
	s_load_dwordx8 s[12:19], s[62:63], 0x0
	s_load_dwordx4 s[44:47], s[62:63], 0x20
	s_load_dwordx4 s[48:51], s[62:63], 0xe0
	s_load_dwordx8 s[20:27], s[62:63], 0xc0
	s_add_i32 s67, s67, 4
	s_waitcnt lgkmcnt(0)
	v_mul_hi_u32 v1, s13, v6
	v_add_u32_e32 v1, v6, v1
	v_lshrrev_b32_e32 v1, s14, v1
	v_mul_hi_u32 v5, s16, v1
	v_add_u32_e32 v5, v1, v5
	v_lshrrev_b32_e32 v5, s17, v5
	v_mul_lo_u32 v3, v1, s12
	v_mul_lo_u32 v9, v5, s15
	v_mul_hi_u32 v10, s19, v5
	v_sub_u32_e32 v3, v6, v3
	v_sub_u32_e32 v1, v1, v9
	v_add_u32_e32 v9, v5, v10
	v_mul_lo_u32 v6, v3, s20
	v_mul_lo_u32 v7, v3, s22
	v_mul_lo_u32 v3, v3, s21
	v_mul_lo_u32 v10, v1, s23
	v_mul_lo_u32 v11, v1, s25
	v_mul_lo_u32 v1, v1, s24
	v_lshrrev_b32_e32 v9, s44, v9
	v_add3_u32 v1, v3, v2, v1
	v_add3_u32 v2, v7, v4, v11
	v_mul_hi_u32 v4, s46, v9
	v_add_u32_e32 v4, v9, v4
	v_add3_u32 v0, v6, v0, v10
	v_lshrrev_b32_e32 v6, s47, v4
	v_mul_lo_u32 v3, v9, s18
	v_mul_lo_u32 v4, v6, s45
	s_add_u32 s62, s62, 48
	v_sub_u32_e32 v3, v5, v3
	v_sub_u32_e32 v4, v9, v4
	s_addc_u32 s63, s63, 0
	v_mul_lo_u32 v5, v3, s26
	v_mul_lo_u32 v7, v3, s27
	;; [unrolled: 1-line block ×6, first 2 shown]
	s_cmp_lg_u32 s4, s67
	v_add3_u32 v0, v5, v0, v9
	v_add3_u32 v4, v3, v2, v4
	;; [unrolled: 1-line block ×3, first 2 shown]
	s_cbranch_scc1 .LBB0_8
; %bb.9:
	v_mov_b32_e32 v1, v4
	s_and_b32 s14, s31, 3
	s_cmp_eq_u32 s14, 0
	s_cbranch_scc0 .LBB0_11
	s_branch .LBB0_13
.LBB0_10:
	v_mov_b32_e32 v2, 0
	s_mov_b32 s4, 0
	v_mov_b32_e32 v1, v2
                                        ; implicit-def: $vgpr4
	v_mov_b32_e32 v6, v8
	v_mov_b32_e32 v0, v2
	s_and_b32 s14, s31, 3
	s_cmp_eq_u32 s14, 0
	s_cbranch_scc1 .LBB0_13
.LBB0_11:
	s_mul_i32 s4, s4, 12
	s_add_u32 s4, s11, s4
	s_addc_u32 s13, s33, 0
	s_add_u32 s12, s4, 4
	s_addc_u32 s13, s13, 0
.LBB0_12:                               ; =>This Inner Loop Header: Depth=1
	s_load_dwordx2 s[16:17], s[12:13], 0x0
	s_load_dword s4, s[12:13], 0x8
	s_load_dwordx2 s[18:19], s[12:13], 0xc0
	s_load_dword s15, s[12:13], 0xc8
	v_mov_b32_e32 v4, v1
	s_waitcnt lgkmcnt(0)
	v_mul_hi_u32 v1, s17, v6
	v_add_u32_e32 v1, v6, v1
	v_lshrrev_b32_e32 v1, s4, v1
	v_mul_lo_u32 v3, v1, s16
	s_add_u32 s12, s12, 12
	v_sub_u32_e32 v3, v6, v3
	s_addc_u32 s13, s13, 0
	s_add_i32 s14, s14, -1
	v_mov_b32_e32 v6, v1
	v_mad_u64_u32 v[0:1], s[16:17], v3, s18, v[0:1]
	v_mad_u64_u32 v[4:5], s[16:17], v3, s15, v[4:5]
	s_cmp_lg_u32 s14, 0
	v_mad_u64_u32 v[2:3], s[16:17], v3, s19, v[2:3]
	v_mov_b32_e32 v1, v4
	s_cbranch_scc1 .LBB0_12
.LBB0_13:
	s_mov_b64 s[12:13], 0
.LBB0_14:
	s_andn2_b64 vcc, exec, s[12:13]
	s_cbranch_vccnz .LBB0_17
; %bb.15:
	v_mul_hi_u32 v0, s6, v8
	v_add_u32_e32 v0, v8, v0
	v_lshrrev_b32_e32 v1, s7, v0
	v_mul_lo_u32 v0, v1, s5
	v_sub_u32_e32 v2, v8, v0
	v_mul_lo_u32 v0, v2, s40
	v_mul_lo_u32 v4, v2, s42
	s_andn2_b64 vcc, exec, s[56:57]
	v_mul_lo_u32 v2, v2, s41
	s_cbranch_vccnz .LBB0_17
; %bb.16:
	v_mul_hi_u32 v3, s9, v1
	v_add_u32_e32 v3, v1, v3
	v_lshrrev_b32_e32 v3, s10, v3
	v_mul_lo_u32 v3, v3, s8
	v_sub_u32_e32 v5, v1, v3
	v_mad_u64_u32 v[0:1], s[12:13], v5, s43, v[0:1]
	v_mad_u64_u32 v[2:3], s[12:13], v5, s54, v[2:3]
	;; [unrolled: 1-line block ×3, first 2 shown]
.LBB0_17:
	s_andn2_b64 vcc, exec, s[52:53]
	s_cbranch_vccnz .LBB0_20
; %bb.18:
	s_waitcnt lgkmcnt(0)
	global_load_ubyte v9, v0, s[36:37]
	v_mov_b32_e32 v1, 0
	v_mov_b32_e32 v3, v1
	;; [unrolled: 1-line block ×3, first 2 shown]
	v_lshl_add_u64 v[6:7], s[36:37], 0, v[0:1]
	v_lshl_add_u64 v[2:3], s[38:39], 0, v[2:3]
	;; [unrolled: 1-line block ×3, first 2 shown]
	s_ashr_i32 s31, s30, 31
	s_ashr_i32 s13, s29, 31
	s_mov_b32 s12, s29
	s_mov_b32 s4, s28
.LBB0_19:                               ; =>This Inner Loop Header: Depth=1
	global_load_ubyte v4, v[2:3], off
	global_load_ubyte v5, v[0:1], off
	s_add_i32 s4, s4, -1
	v_lshl_add_u64 v[0:1], v[0:1], 0, s[30:31]
	v_lshl_add_u64 v[2:3], v[2:3], 0, s[12:13]
	s_cmp_lg_u32 s4, 0
	s_waitcnt vmcnt(0)
	v_mad_legacy_u16 v9, v5, v4, v9
	global_store_byte v[6:7], v9, off
	s_cbranch_scc1 .LBB0_19
.LBB0_20:
	v_add_u32_e32 v8, 0x100, v8
	s_or_b64 exec, exec, s[60:61]
	v_cmp_gt_i32_e32 vcc, s66, v8
	s_and_saveexec_b64 s[60:61], vcc
	s_cbranch_execz .LBB0_2
.LBB0_21:
	s_and_b64 vcc, exec, s[0:1]
	s_cbranch_vccnz .LBB0_27
; %bb.22:
	v_mov_b32_e32 v4, 0
	s_andn2_b64 vcc, exec, s[2:3]
	v_mov_b32_e32 v2, 0
	v_mov_b32_e32 v0, 0
	s_cbranch_vccnz .LBB0_31
; %bb.23:
	s_add_i32 s31, s65, 1
	s_cmp_eq_u32 s64, 2
	s_cbranch_scc1 .LBB0_28
; %bb.24:
	s_and_b32 s4, s31, 28
	v_mov_b32_e32 v0, 0
	s_mov_b32 s67, 0
	s_mov_b64 s[62:63], s[58:59]
	v_mov_b32_e32 v6, v8
	v_mov_b32_e32 v2, 0
	;; [unrolled: 1-line block ×3, first 2 shown]
.LBB0_25:                               ; =>This Inner Loop Header: Depth=1
	s_load_dwordx8 s[12:19], s[62:63], 0x0
	s_load_dwordx4 s[44:47], s[62:63], 0x20
	s_load_dwordx4 s[48:51], s[62:63], 0xe0
	s_load_dwordx8 s[20:27], s[62:63], 0xc0
	s_add_i32 s67, s67, 4
	s_waitcnt lgkmcnt(0)
	v_mul_hi_u32 v1, s13, v6
	v_add_u32_e32 v1, v6, v1
	v_lshrrev_b32_e32 v1, s14, v1
	v_mul_hi_u32 v5, s16, v1
	v_add_u32_e32 v5, v1, v5
	v_lshrrev_b32_e32 v5, s17, v5
	v_mul_lo_u32 v3, v1, s12
	v_mul_lo_u32 v9, v5, s15
	v_mul_hi_u32 v10, s19, v5
	v_sub_u32_e32 v3, v6, v3
	v_sub_u32_e32 v1, v1, v9
	v_add_u32_e32 v9, v5, v10
	v_mul_lo_u32 v6, v3, s20
	v_mul_lo_u32 v7, v3, s22
	;; [unrolled: 1-line block ×6, first 2 shown]
	v_lshrrev_b32_e32 v9, s44, v9
	v_add3_u32 v1, v3, v2, v1
	v_add3_u32 v2, v7, v4, v11
	v_mul_hi_u32 v4, s46, v9
	v_add_u32_e32 v4, v9, v4
	v_add3_u32 v0, v6, v0, v10
	v_lshrrev_b32_e32 v6, s47, v4
	v_mul_lo_u32 v3, v9, s18
	v_mul_lo_u32 v4, v6, s45
	s_add_u32 s62, s62, 48
	v_sub_u32_e32 v3, v5, v3
	v_sub_u32_e32 v4, v9, v4
	s_addc_u32 s63, s63, 0
	v_mul_lo_u32 v5, v3, s26
	v_mul_lo_u32 v7, v3, s27
	;; [unrolled: 1-line block ×6, first 2 shown]
	s_cmp_eq_u32 s4, s67
	v_add3_u32 v0, v5, v0, v9
	v_add3_u32 v4, v3, v2, v4
	;; [unrolled: 1-line block ×3, first 2 shown]
	s_cbranch_scc0 .LBB0_25
; %bb.26:
	v_mov_b32_e32 v1, v4
	s_and_b32 s14, s31, 3
	s_cmp_eq_u32 s14, 0
	s_cbranch_scc0 .LBB0_29
	s_branch .LBB0_31
.LBB0_27:
                                        ; implicit-def: $vgpr4
                                        ; implicit-def: $vgpr2
                                        ; implicit-def: $vgpr0
	s_branch .LBB0_32
.LBB0_28:
	v_mov_b32_e32 v2, 0
	s_mov_b32 s4, 0
	v_mov_b32_e32 v1, v2
                                        ; implicit-def: $vgpr4
	v_mov_b32_e32 v6, v8
	v_mov_b32_e32 v0, v2
	s_and_b32 s14, s31, 3
	s_cmp_eq_u32 s14, 0
	s_cbranch_scc1 .LBB0_31
.LBB0_29:
	s_mul_i32 s4, s4, 12
	s_add_u32 s4, s11, s4
	s_addc_u32 s13, s33, 0
	s_add_u32 s12, s4, 4
	s_addc_u32 s13, s13, 0
.LBB0_30:                               ; =>This Inner Loop Header: Depth=1
	s_load_dwordx2 s[16:17], s[12:13], 0x0
	s_load_dword s4, s[12:13], 0x8
	s_load_dwordx2 s[18:19], s[12:13], 0xc0
	s_load_dword s15, s[12:13], 0xc8
	v_mov_b32_e32 v4, v1
	s_waitcnt lgkmcnt(0)
	v_mul_hi_u32 v1, s17, v6
	v_add_u32_e32 v1, v6, v1
	v_lshrrev_b32_e32 v1, s4, v1
	v_mul_lo_u32 v3, v1, s16
	s_add_u32 s12, s12, 12
	v_sub_u32_e32 v3, v6, v3
	s_addc_u32 s13, s13, 0
	s_add_i32 s14, s14, -1
	v_mov_b32_e32 v6, v1
	v_mad_u64_u32 v[0:1], s[16:17], v3, s18, v[0:1]
	v_mad_u64_u32 v[4:5], s[16:17], v3, s15, v[4:5]
	s_cmp_lg_u32 s14, 0
	v_mad_u64_u32 v[2:3], s[16:17], v3, s19, v[2:3]
	v_mov_b32_e32 v1, v4
	s_cbranch_scc1 .LBB0_30
.LBB0_31:
	s_cbranch_execnz .LBB0_34
.LBB0_32:
	v_mul_hi_u32 v0, s6, v8
	v_add_u32_e32 v0, v8, v0
	v_lshrrev_b32_e32 v1, s7, v0
	v_mul_lo_u32 v0, v1, s5
	v_sub_u32_e32 v2, v8, v0
	v_mul_lo_u32 v0, v2, s40
	v_mul_lo_u32 v4, v2, s42
	s_andn2_b64 vcc, exec, s[56:57]
	v_mul_lo_u32 v2, v2, s41
	s_cbranch_vccnz .LBB0_34
; %bb.33:
	v_mul_hi_u32 v3, s9, v1
	v_add_u32_e32 v3, v1, v3
	v_lshrrev_b32_e32 v3, s10, v3
	v_mul_lo_u32 v3, v3, s8
	v_sub_u32_e32 v5, v1, v3
	v_mad_u64_u32 v[0:1], s[12:13], v5, s43, v[0:1]
	v_mad_u64_u32 v[2:3], s[12:13], v5, s54, v[2:3]
	v_mad_u64_u32 v[4:5], s[12:13], v5, s55, v[4:5]
.LBB0_34:
	s_andn2_b64 vcc, exec, s[52:53]
	s_cbranch_vccnz .LBB0_37
; %bb.35:
	s_waitcnt lgkmcnt(0)
	global_load_ubyte v9, v0, s[36:37]
	v_mov_b32_e32 v1, 0
	v_mov_b32_e32 v3, v1
	;; [unrolled: 1-line block ×3, first 2 shown]
	v_lshl_add_u64 v[6:7], s[36:37], 0, v[0:1]
	v_lshl_add_u64 v[2:3], s[38:39], 0, v[2:3]
	v_lshl_add_u64 v[0:1], s[34:35], 0, v[4:5]
	s_ashr_i32 s31, s30, 31
	s_ashr_i32 s13, s29, 31
	s_mov_b32 s12, s29
	s_mov_b32 s4, s28
.LBB0_36:                               ; =>This Inner Loop Header: Depth=1
	global_load_ubyte v4, v[2:3], off
	global_load_ubyte v5, v[0:1], off
	s_add_i32 s4, s4, -1
	v_lshl_add_u64 v[0:1], v[0:1], 0, s[30:31]
	v_lshl_add_u64 v[2:3], v[2:3], 0, s[12:13]
	s_cmp_lg_u32 s4, 0
	s_waitcnt vmcnt(0)
	v_mad_legacy_u16 v9, v5, v4, v9
	global_store_byte v[6:7], v9, off
	s_cbranch_scc1 .LBB0_36
.LBB0_37:
	v_add_u32_e32 v8, 0x100, v8
	s_or_b64 exec, exec, s[60:61]
	v_cmp_gt_i32_e32 vcc, s66, v8
	s_and_saveexec_b64 s[60:61], vcc
	s_cbranch_execz .LBB0_3
.LBB0_38:
	s_and_b64 vcc, exec, s[0:1]
	s_cbranch_vccnz .LBB0_44
; %bb.39:
	v_mov_b32_e32 v4, 0
	s_andn2_b64 vcc, exec, s[2:3]
	v_mov_b32_e32 v2, 0
	v_mov_b32_e32 v0, 0
	s_cbranch_vccnz .LBB0_48
; %bb.40:
	s_add_i32 s31, s65, 1
	s_cmp_eq_u32 s64, 2
	s_cbranch_scc1 .LBB0_45
; %bb.41:
	s_and_b32 s4, s31, 28
	v_mov_b32_e32 v0, 0
	s_mov_b32 s67, 0
	s_mov_b64 s[62:63], s[58:59]
	v_mov_b32_e32 v6, v8
	v_mov_b32_e32 v2, 0
	;; [unrolled: 1-line block ×3, first 2 shown]
.LBB0_42:                               ; =>This Inner Loop Header: Depth=1
	s_load_dwordx8 s[12:19], s[62:63], 0x0
	s_load_dwordx4 s[44:47], s[62:63], 0x20
	s_load_dwordx4 s[48:51], s[62:63], 0xe0
	s_load_dwordx8 s[20:27], s[62:63], 0xc0
	s_add_i32 s67, s67, 4
	s_waitcnt lgkmcnt(0)
	v_mul_hi_u32 v1, s13, v6
	v_add_u32_e32 v1, v6, v1
	v_lshrrev_b32_e32 v1, s14, v1
	v_mul_hi_u32 v5, s16, v1
	v_add_u32_e32 v5, v1, v5
	v_lshrrev_b32_e32 v5, s17, v5
	v_mul_lo_u32 v3, v1, s12
	v_mul_lo_u32 v9, v5, s15
	v_mul_hi_u32 v10, s19, v5
	v_sub_u32_e32 v3, v6, v3
	v_sub_u32_e32 v1, v1, v9
	v_add_u32_e32 v9, v5, v10
	v_mul_lo_u32 v6, v3, s20
	v_mul_lo_u32 v7, v3, s22
	;; [unrolled: 1-line block ×6, first 2 shown]
	v_lshrrev_b32_e32 v9, s44, v9
	v_add3_u32 v1, v3, v2, v1
	v_add3_u32 v2, v7, v4, v11
	v_mul_hi_u32 v4, s46, v9
	v_add_u32_e32 v4, v9, v4
	v_add3_u32 v0, v6, v0, v10
	v_lshrrev_b32_e32 v6, s47, v4
	v_mul_lo_u32 v3, v9, s18
	v_mul_lo_u32 v4, v6, s45
	s_add_u32 s62, s62, 48
	v_sub_u32_e32 v3, v5, v3
	v_sub_u32_e32 v4, v9, v4
	s_addc_u32 s63, s63, 0
	v_mul_lo_u32 v5, v3, s26
	v_mul_lo_u32 v7, v3, s27
	;; [unrolled: 1-line block ×6, first 2 shown]
	s_cmp_eq_u32 s4, s67
	v_add3_u32 v0, v5, v0, v9
	v_add3_u32 v4, v3, v2, v4
	;; [unrolled: 1-line block ×3, first 2 shown]
	s_cbranch_scc0 .LBB0_42
; %bb.43:
	v_mov_b32_e32 v1, v4
	s_and_b32 s14, s31, 3
	s_cmp_eq_u32 s14, 0
	s_cbranch_scc0 .LBB0_46
	s_branch .LBB0_48
.LBB0_44:
                                        ; implicit-def: $vgpr4
                                        ; implicit-def: $vgpr2
                                        ; implicit-def: $vgpr0
	s_branch .LBB0_49
.LBB0_45:
	v_mov_b32_e32 v2, 0
	s_mov_b32 s4, 0
	v_mov_b32_e32 v1, v2
                                        ; implicit-def: $vgpr4
	v_mov_b32_e32 v6, v8
	v_mov_b32_e32 v0, v2
	s_and_b32 s14, s31, 3
	s_cmp_eq_u32 s14, 0
	s_cbranch_scc1 .LBB0_48
.LBB0_46:
	s_mul_i32 s4, s4, 12
	s_add_u32 s4, s11, s4
	s_addc_u32 s13, s33, 0
	s_add_u32 s12, s4, 4
	s_addc_u32 s13, s13, 0
.LBB0_47:                               ; =>This Inner Loop Header: Depth=1
	s_load_dwordx2 s[16:17], s[12:13], 0x0
	s_load_dword s4, s[12:13], 0x8
	s_load_dwordx2 s[18:19], s[12:13], 0xc0
	s_load_dword s15, s[12:13], 0xc8
	v_mov_b32_e32 v4, v1
	s_waitcnt lgkmcnt(0)
	v_mul_hi_u32 v1, s17, v6
	v_add_u32_e32 v1, v6, v1
	v_lshrrev_b32_e32 v1, s4, v1
	v_mul_lo_u32 v3, v1, s16
	s_add_u32 s12, s12, 12
	v_sub_u32_e32 v3, v6, v3
	s_addc_u32 s13, s13, 0
	s_add_i32 s14, s14, -1
	v_mov_b32_e32 v6, v1
	v_mad_u64_u32 v[0:1], s[16:17], v3, s18, v[0:1]
	v_mad_u64_u32 v[4:5], s[16:17], v3, s15, v[4:5]
	s_cmp_lg_u32 s14, 0
	v_mad_u64_u32 v[2:3], s[16:17], v3, s19, v[2:3]
	v_mov_b32_e32 v1, v4
	s_cbranch_scc1 .LBB0_47
.LBB0_48:
	s_cbranch_execnz .LBB0_51
.LBB0_49:
	v_mul_hi_u32 v0, s6, v8
	v_add_u32_e32 v0, v8, v0
	v_lshrrev_b32_e32 v1, s7, v0
	v_mul_lo_u32 v0, v1, s5
	v_sub_u32_e32 v2, v8, v0
	v_mul_lo_u32 v0, v2, s40
	v_mul_lo_u32 v4, v2, s42
	s_andn2_b64 vcc, exec, s[56:57]
	v_mul_lo_u32 v2, v2, s41
	s_cbranch_vccnz .LBB0_51
; %bb.50:
	v_mul_hi_u32 v3, s9, v1
	v_add_u32_e32 v3, v1, v3
	v_lshrrev_b32_e32 v3, s10, v3
	v_mul_lo_u32 v3, v3, s8
	v_sub_u32_e32 v5, v1, v3
	v_mad_u64_u32 v[0:1], s[12:13], v5, s43, v[0:1]
	v_mad_u64_u32 v[2:3], s[12:13], v5, s54, v[2:3]
	;; [unrolled: 1-line block ×3, first 2 shown]
.LBB0_51:
	s_andn2_b64 vcc, exec, s[52:53]
	s_cbranch_vccnz .LBB0_54
; %bb.52:
	s_waitcnt lgkmcnt(0)
	global_load_ubyte v9, v0, s[36:37]
	v_mov_b32_e32 v1, 0
	v_mov_b32_e32 v3, v1
	v_mov_b32_e32 v5, v1
	v_lshl_add_u64 v[6:7], s[36:37], 0, v[0:1]
	v_lshl_add_u64 v[2:3], s[38:39], 0, v[2:3]
	;; [unrolled: 1-line block ×3, first 2 shown]
	s_ashr_i32 s31, s30, 31
	s_ashr_i32 s13, s29, 31
	s_mov_b32 s12, s29
	s_mov_b32 s4, s28
.LBB0_53:                               ; =>This Inner Loop Header: Depth=1
	global_load_ubyte v4, v[2:3], off
	global_load_ubyte v5, v[0:1], off
	s_add_i32 s4, s4, -1
	v_lshl_add_u64 v[0:1], v[0:1], 0, s[30:31]
	v_lshl_add_u64 v[2:3], v[2:3], 0, s[12:13]
	s_cmp_lg_u32 s4, 0
	s_waitcnt vmcnt(0)
	v_mad_legacy_u16 v9, v5, v4, v9
	global_store_byte v[6:7], v9, off
	s_cbranch_scc1 .LBB0_53
.LBB0_54:
	v_add_u32_e32 v8, 0x100, v8
	s_or_b64 exec, exec, s[60:61]
	v_cmp_gt_i32_e32 vcc, s66, v8
	s_and_saveexec_b64 s[12:13], vcc
	s_cbranch_execz .LBB0_71
.LBB0_55:
	s_and_b64 vcc, exec, s[0:1]
	s_cbranch_vccnz .LBB0_61
; %bb.56:
	v_mov_b32_e32 v4, 0
	s_andn2_b64 vcc, exec, s[2:3]
	v_mov_b32_e32 v2, 0
	v_mov_b32_e32 v0, 0
	s_cbranch_vccnz .LBB0_65
; %bb.57:
	s_add_i32 s65, s65, 1
	s_cmp_eq_u32 s64, 2
	s_cbranch_scc1 .LBB0_62
; %bb.58:
	s_and_b32 s4, s65, 28
	v_mov_b32_e32 v0, 0
	s_mov_b32 s31, 0
	v_mov_b32_e32 v6, v8
	v_mov_b32_e32 v2, 0
	;; [unrolled: 1-line block ×3, first 2 shown]
.LBB0_59:                               ; =>This Inner Loop Header: Depth=1
	s_load_dwordx8 s[12:19], s[58:59], 0x0
	s_load_dwordx4 s[0:3], s[58:59], 0x20
	s_load_dwordx4 s[44:47], s[58:59], 0xe0
	s_load_dwordx8 s[20:27], s[58:59], 0xc0
	s_add_i32 s31, s31, 4
	s_waitcnt lgkmcnt(0)
	v_mul_hi_u32 v1, s13, v6
	v_add_u32_e32 v1, v6, v1
	v_lshrrev_b32_e32 v1, s14, v1
	v_mul_hi_u32 v5, s16, v1
	v_add_u32_e32 v5, v1, v5
	v_lshrrev_b32_e32 v5, s17, v5
	v_mul_lo_u32 v3, v1, s12
	v_mul_lo_u32 v9, v5, s15
	v_mul_hi_u32 v10, s19, v5
	v_sub_u32_e32 v3, v6, v3
	v_sub_u32_e32 v1, v1, v9
	v_add_u32_e32 v9, v5, v10
	v_mul_lo_u32 v6, v3, s20
	v_mul_lo_u32 v7, v3, s22
	;; [unrolled: 1-line block ×6, first 2 shown]
	v_lshrrev_b32_e32 v9, s0, v9
	v_add3_u32 v1, v3, v2, v1
	v_add3_u32 v2, v7, v4, v11
	v_mul_hi_u32 v4, s2, v9
	v_add_u32_e32 v4, v9, v4
	v_add3_u32 v0, v6, v0, v10
	v_lshrrev_b32_e32 v6, s3, v4
	v_mul_lo_u32 v3, v9, s18
	v_mul_lo_u32 v4, v6, s1
	s_add_u32 s58, s58, 48
	v_sub_u32_e32 v3, v5, v3
	v_sub_u32_e32 v4, v9, v4
	s_addc_u32 s59, s59, 0
	v_mul_lo_u32 v5, v3, s26
	v_mul_lo_u32 v7, v3, s27
	;; [unrolled: 1-line block ×6, first 2 shown]
	s_cmp_eq_u32 s4, s31
	v_add3_u32 v0, v5, v0, v9
	v_add3_u32 v4, v3, v2, v4
	;; [unrolled: 1-line block ×3, first 2 shown]
	s_cbranch_scc0 .LBB0_59
; %bb.60:
	v_mov_b32_e32 v1, v4
	s_and_b32 s2, s65, 3
	s_cmp_eq_u32 s2, 0
	s_cbranch_scc0 .LBB0_63
	s_branch .LBB0_65
.LBB0_61:
                                        ; implicit-def: $vgpr4
                                        ; implicit-def: $vgpr2
                                        ; implicit-def: $vgpr0
	s_branch .LBB0_66
.LBB0_62:
	v_mov_b32_e32 v2, 0
	s_mov_b32 s4, 0
	v_mov_b32_e32 v1, v2
                                        ; implicit-def: $vgpr4
	v_mov_b32_e32 v6, v8
	v_mov_b32_e32 v0, v2
	s_and_b32 s2, s65, 3
	s_cmp_eq_u32 s2, 0
	s_cbranch_scc1 .LBB0_65
.LBB0_63:
	s_mul_i32 s0, s4, 12
	s_add_u32 s0, s11, s0
	s_addc_u32 s1, s33, 0
	s_add_u32 s0, s0, 4
	s_addc_u32 s1, s1, 0
.LBB0_64:                               ; =>This Inner Loop Header: Depth=1
	s_load_dwordx2 s[12:13], s[0:1], 0x0
	s_load_dword s3, s[0:1], 0x8
	s_load_dwordx2 s[14:15], s[0:1], 0xc0
	s_load_dword s4, s[0:1], 0xc8
	v_mov_b32_e32 v4, v1
	s_waitcnt lgkmcnt(0)
	v_mul_hi_u32 v1, s13, v6
	v_add_u32_e32 v1, v6, v1
	v_lshrrev_b32_e32 v1, s3, v1
	v_mul_lo_u32 v3, v1, s12
	s_add_u32 s0, s0, 12
	v_sub_u32_e32 v3, v6, v3
	s_addc_u32 s1, s1, 0
	s_add_i32 s2, s2, -1
	v_mov_b32_e32 v6, v1
	v_mad_u64_u32 v[0:1], s[12:13], v3, s14, v[0:1]
	v_mad_u64_u32 v[4:5], s[12:13], v3, s4, v[4:5]
	s_cmp_lg_u32 s2, 0
	v_mad_u64_u32 v[2:3], s[12:13], v3, s15, v[2:3]
	v_mov_b32_e32 v1, v4
	s_cbranch_scc1 .LBB0_64
.LBB0_65:
	s_cbranch_execnz .LBB0_68
.LBB0_66:
	v_mul_hi_u32 v0, s6, v8
	v_add_u32_e32 v0, v8, v0
	v_lshrrev_b32_e32 v1, s7, v0
	v_mul_lo_u32 v0, v1, s5
	v_sub_u32_e32 v2, v8, v0
	v_mul_lo_u32 v0, v2, s40
	v_mul_lo_u32 v4, v2, s42
	s_andn2_b64 vcc, exec, s[56:57]
	v_mul_lo_u32 v2, v2, s41
	s_cbranch_vccnz .LBB0_68
; %bb.67:
	v_mul_hi_u32 v3, s9, v1
	v_add_u32_e32 v3, v1, v3
	v_lshrrev_b32_e32 v3, s10, v3
	v_mul_lo_u32 v3, v3, s8
	v_sub_u32_e32 v5, v1, v3
	v_mad_u64_u32 v[0:1], s[0:1], v5, s43, v[0:1]
	v_mad_u64_u32 v[2:3], s[0:1], v5, s54, v[2:3]
	;; [unrolled: 1-line block ×3, first 2 shown]
.LBB0_68:
	s_andn2_b64 vcc, exec, s[52:53]
	s_cbranch_vccnz .LBB0_71
; %bb.69:
	s_waitcnt lgkmcnt(0)
	global_load_ubyte v8, v0, s[36:37]
	v_mov_b32_e32 v1, 0
	v_mov_b32_e32 v3, v1
	;; [unrolled: 1-line block ×3, first 2 shown]
	v_lshl_add_u64 v[6:7], s[36:37], 0, v[0:1]
	v_lshl_add_u64 v[2:3], s[38:39], 0, v[2:3]
	;; [unrolled: 1-line block ×3, first 2 shown]
	s_ashr_i32 s31, s30, 31
	s_ashr_i32 s1, s29, 31
	s_mov_b32 s0, s29
.LBB0_70:                               ; =>This Inner Loop Header: Depth=1
	global_load_ubyte v4, v[2:3], off
	global_load_ubyte v5, v[0:1], off
	s_add_i32 s28, s28, -1
	v_lshl_add_u64 v[0:1], v[0:1], 0, s[30:31]
	v_lshl_add_u64 v[2:3], v[2:3], 0, s[0:1]
	s_cmp_lg_u32 s28, 0
	s_waitcnt vmcnt(0)
	v_mad_legacy_u16 v8, v5, v4, v8
	global_store_byte v[6:7], v8, off
	s_cbranch_scc1 .LBB0_70
.LBB0_71:
	s_endpgm
	.section	.rodata,"a",@progbits
	.p2align	6, 0x0
	.amdhsa_kernel _ZN2at6native12_GLOBAL__N_116_elemwise_kernelILi256ELi4EZNS1_43_compute_linear_combination_internal_kernelIhEEvRNS_14TensorIteratorEiiiEUliE_EEviT1_
		.amdhsa_group_segment_fixed_size 0
		.amdhsa_private_segment_fixed_size 0
		.amdhsa_kernarg_size 440
		.amdhsa_user_sgpr_count 2
		.amdhsa_user_sgpr_dispatch_ptr 0
		.amdhsa_user_sgpr_queue_ptr 0
		.amdhsa_user_sgpr_kernarg_segment_ptr 1
		.amdhsa_user_sgpr_dispatch_id 0
		.amdhsa_user_sgpr_kernarg_preload_length 0
		.amdhsa_user_sgpr_kernarg_preload_offset 0
		.amdhsa_user_sgpr_private_segment_size 0
		.amdhsa_uses_dynamic_stack 0
		.amdhsa_enable_private_segment 0
		.amdhsa_system_sgpr_workgroup_id_x 1
		.amdhsa_system_sgpr_workgroup_id_y 0
		.amdhsa_system_sgpr_workgroup_id_z 0
		.amdhsa_system_sgpr_workgroup_info 0
		.amdhsa_system_vgpr_workitem_id 0
		.amdhsa_next_free_vgpr 12
		.amdhsa_next_free_sgpr 68
		.amdhsa_accum_offset 12
		.amdhsa_reserve_vcc 1
		.amdhsa_float_round_mode_32 0
		.amdhsa_float_round_mode_16_64 0
		.amdhsa_float_denorm_mode_32 3
		.amdhsa_float_denorm_mode_16_64 3
		.amdhsa_dx10_clamp 1
		.amdhsa_ieee_mode 1
		.amdhsa_fp16_overflow 0
		.amdhsa_tg_split 0
		.amdhsa_exception_fp_ieee_invalid_op 0
		.amdhsa_exception_fp_denorm_src 0
		.amdhsa_exception_fp_ieee_div_zero 0
		.amdhsa_exception_fp_ieee_overflow 0
		.amdhsa_exception_fp_ieee_underflow 0
		.amdhsa_exception_fp_ieee_inexact 0
		.amdhsa_exception_int_div_zero 0
	.end_amdhsa_kernel
	.section	.text._ZN2at6native12_GLOBAL__N_116_elemwise_kernelILi256ELi4EZNS1_43_compute_linear_combination_internal_kernelIhEEvRNS_14TensorIteratorEiiiEUliE_EEviT1_,"axG",@progbits,_ZN2at6native12_GLOBAL__N_116_elemwise_kernelILi256ELi4EZNS1_43_compute_linear_combination_internal_kernelIhEEvRNS_14TensorIteratorEiiiEUliE_EEviT1_,comdat
.Lfunc_end0:
	.size	_ZN2at6native12_GLOBAL__N_116_elemwise_kernelILi256ELi4EZNS1_43_compute_linear_combination_internal_kernelIhEEvRNS_14TensorIteratorEiiiEUliE_EEviT1_, .Lfunc_end0-_ZN2at6native12_GLOBAL__N_116_elemwise_kernelILi256ELi4EZNS1_43_compute_linear_combination_internal_kernelIhEEvRNS_14TensorIteratorEiiiEUliE_EEviT1_
                                        ; -- End function
	.set _ZN2at6native12_GLOBAL__N_116_elemwise_kernelILi256ELi4EZNS1_43_compute_linear_combination_internal_kernelIhEEvRNS_14TensorIteratorEiiiEUliE_EEviT1_.num_vgpr, 12
	.set _ZN2at6native12_GLOBAL__N_116_elemwise_kernelILi256ELi4EZNS1_43_compute_linear_combination_internal_kernelIhEEvRNS_14TensorIteratorEiiiEUliE_EEviT1_.num_agpr, 0
	.set _ZN2at6native12_GLOBAL__N_116_elemwise_kernelILi256ELi4EZNS1_43_compute_linear_combination_internal_kernelIhEEvRNS_14TensorIteratorEiiiEUliE_EEviT1_.numbered_sgpr, 68
	.set _ZN2at6native12_GLOBAL__N_116_elemwise_kernelILi256ELi4EZNS1_43_compute_linear_combination_internal_kernelIhEEvRNS_14TensorIteratorEiiiEUliE_EEviT1_.num_named_barrier, 0
	.set _ZN2at6native12_GLOBAL__N_116_elemwise_kernelILi256ELi4EZNS1_43_compute_linear_combination_internal_kernelIhEEvRNS_14TensorIteratorEiiiEUliE_EEviT1_.private_seg_size, 0
	.set _ZN2at6native12_GLOBAL__N_116_elemwise_kernelILi256ELi4EZNS1_43_compute_linear_combination_internal_kernelIhEEvRNS_14TensorIteratorEiiiEUliE_EEviT1_.uses_vcc, 1
	.set _ZN2at6native12_GLOBAL__N_116_elemwise_kernelILi256ELi4EZNS1_43_compute_linear_combination_internal_kernelIhEEvRNS_14TensorIteratorEiiiEUliE_EEviT1_.uses_flat_scratch, 0
	.set _ZN2at6native12_GLOBAL__N_116_elemwise_kernelILi256ELi4EZNS1_43_compute_linear_combination_internal_kernelIhEEvRNS_14TensorIteratorEiiiEUliE_EEviT1_.has_dyn_sized_stack, 0
	.set _ZN2at6native12_GLOBAL__N_116_elemwise_kernelILi256ELi4EZNS1_43_compute_linear_combination_internal_kernelIhEEvRNS_14TensorIteratorEiiiEUliE_EEviT1_.has_recursion, 0
	.set _ZN2at6native12_GLOBAL__N_116_elemwise_kernelILi256ELi4EZNS1_43_compute_linear_combination_internal_kernelIhEEvRNS_14TensorIteratorEiiiEUliE_EEviT1_.has_indirect_call, 0
	.section	.AMDGPU.csdata,"",@progbits
; Kernel info:
; codeLenInByte = 3600
; TotalNumSgprs: 74
; NumVgprs: 12
; NumAgprs: 0
; TotalNumVgprs: 12
; ScratchSize: 0
; MemoryBound: 0
; FloatMode: 240
; IeeeMode: 1
; LDSByteSize: 0 bytes/workgroup (compile time only)
; SGPRBlocks: 9
; VGPRBlocks: 1
; NumSGPRsForWavesPerEU: 74
; NumVGPRsForWavesPerEU: 12
; AccumOffset: 12
; Occupancy: 8
; WaveLimiterHint : 1
; COMPUTE_PGM_RSRC2:SCRATCH_EN: 0
; COMPUTE_PGM_RSRC2:USER_SGPR: 2
; COMPUTE_PGM_RSRC2:TRAP_HANDLER: 0
; COMPUTE_PGM_RSRC2:TGID_X_EN: 1
; COMPUTE_PGM_RSRC2:TGID_Y_EN: 0
; COMPUTE_PGM_RSRC2:TGID_Z_EN: 0
; COMPUTE_PGM_RSRC2:TIDIG_COMP_CNT: 0
; COMPUTE_PGM_RSRC3_GFX90A:ACCUM_OFFSET: 2
; COMPUTE_PGM_RSRC3_GFX90A:TG_SPLIT: 0
	.section	.text._ZN2at6native12_GLOBAL__N_116_elemwise_kernelILi256ELi4EZNS1_43_compute_linear_combination_internal_kernelIaEEvRNS_14TensorIteratorEiiiEUliE_EEviT1_,"axG",@progbits,_ZN2at6native12_GLOBAL__N_116_elemwise_kernelILi256ELi4EZNS1_43_compute_linear_combination_internal_kernelIaEEvRNS_14TensorIteratorEiiiEUliE_EEviT1_,comdat
	.globl	_ZN2at6native12_GLOBAL__N_116_elemwise_kernelILi256ELi4EZNS1_43_compute_linear_combination_internal_kernelIaEEvRNS_14TensorIteratorEiiiEUliE_EEviT1_ ; -- Begin function _ZN2at6native12_GLOBAL__N_116_elemwise_kernelILi256ELi4EZNS1_43_compute_linear_combination_internal_kernelIaEEvRNS_14TensorIteratorEiiiEUliE_EEviT1_
	.p2align	8
	.type	_ZN2at6native12_GLOBAL__N_116_elemwise_kernelILi256ELi4EZNS1_43_compute_linear_combination_internal_kernelIaEEvRNS_14TensorIteratorEiiiEUliE_EEviT1_,@function
_ZN2at6native12_GLOBAL__N_116_elemwise_kernelILi256ELi4EZNS1_43_compute_linear_combination_internal_kernelIaEEvRNS_14TensorIteratorEiiiEUliE_EEviT1_: ; @_ZN2at6native12_GLOBAL__N_116_elemwise_kernelILi256ELi4EZNS1_43_compute_linear_combination_internal_kernelIaEEvRNS_14TensorIteratorEiiiEUliE_EEviT1_
; %bb.0:
	s_load_dword s66, s[0:1], 0x0
	s_load_dwordx8 s[4:11], s[0:1], 0x8
	s_load_dwordx4 s[40:43], s[0:1], 0xcc
	s_load_dwordx2 s[54:55], s[0:1], 0xdc
	s_load_dwordx4 s[28:31], s[0:1], 0x1a8
	v_lshl_or_b32 v8, s2, 10, v0
	s_waitcnt lgkmcnt(0)
	s_add_u32 s11, s0, 8
	s_load_dwordx2 s[34:35], s[0:1], 0x1a0
	s_load_dwordx4 s[36:39], s[0:1], 0x190
	v_sub_co_u32_e64 v0, s[2:3], s4, 1
	s_nop 0
	v_readfirstlane_b32 s64, v0
	s_addc_u32 s33, s1, 0
	s_xor_b64 s[2:3], s[2:3], -1
	s_or_b32 s58, s0, 12
	s_min_u32 s65, s64, 15
	s_mov_b32 s59, s1
	s_cmp_gt_u32 s4, 1
	v_cmp_lt_u32_e64 s[0:1], 1, v0
	s_cselect_b64 s[56:57], -1, 0
	s_cmp_gt_i32 s28, 0
	v_cndmask_b32_e64 v0, 0, 1, s[0:1]
	s_mov_b64 s[12:13], -1
	s_cselect_b64 s[52:53], -1, 0
	v_cmp_gt_i32_e32 vcc, s66, v8
	v_cmp_ne_u32_e64 s[0:1], 1, v0
	s_and_saveexec_b64 s[60:61], vcc
	s_cbranch_execnz .LBB1_4
; %bb.1:
	s_or_b64 exec, exec, s[60:61]
	v_cmp_gt_i32_e32 vcc, s66, v8
	s_and_saveexec_b64 s[60:61], vcc
	s_cbranch_execnz .LBB1_21
.LBB1_2:
	s_or_b64 exec, exec, s[60:61]
	v_cmp_gt_i32_e32 vcc, s66, v8
	s_and_saveexec_b64 s[60:61], vcc
	s_cbranch_execnz .LBB1_38
.LBB1_3:
	s_or_b64 exec, exec, s[60:61]
	v_cmp_gt_i32_e32 vcc, s66, v8
	s_and_saveexec_b64 s[12:13], vcc
	s_cbranch_execnz .LBB1_55
	s_branch .LBB1_71
.LBB1_4:
	s_and_b64 vcc, exec, s[0:1]
                                        ; implicit-def: $vgpr4
                                        ; implicit-def: $vgpr2
                                        ; implicit-def: $vgpr0
	s_cbranch_vccnz .LBB1_14
; %bb.5:
	v_mov_b32_e32 v4, 0
	s_andn2_b64 vcc, exec, s[2:3]
	v_mov_b32_e32 v2, 0
	v_mov_b32_e32 v0, 0
	s_cbranch_vccnz .LBB1_13
; %bb.6:
	s_add_i32 s31, s65, 1
	s_cmp_eq_u32 s64, 2
	s_cbranch_scc1 .LBB1_10
; %bb.7:
	s_and_b32 s4, s31, 28
	v_mov_b32_e32 v0, 0
	s_mov_b32 s67, 0
	s_mov_b64 s[62:63], s[58:59]
	v_mov_b32_e32 v6, v8
	v_mov_b32_e32 v2, 0
	;; [unrolled: 1-line block ×3, first 2 shown]
.LBB1_8:                                ; =>This Inner Loop Header: Depth=1
	s_load_dwordx8 s[12:19], s[62:63], 0x0
	s_load_dwordx4 s[44:47], s[62:63], 0x20
	s_load_dwordx4 s[48:51], s[62:63], 0xe0
	s_load_dwordx8 s[20:27], s[62:63], 0xc0
	s_add_i32 s67, s67, 4
	s_waitcnt lgkmcnt(0)
	v_mul_hi_u32 v1, s13, v6
	v_add_u32_e32 v1, v6, v1
	v_lshrrev_b32_e32 v1, s14, v1
	v_mul_hi_u32 v5, s16, v1
	v_add_u32_e32 v5, v1, v5
	v_lshrrev_b32_e32 v5, s17, v5
	v_mul_lo_u32 v3, v1, s12
	v_mul_lo_u32 v9, v5, s15
	v_mul_hi_u32 v10, s19, v5
	v_sub_u32_e32 v3, v6, v3
	v_sub_u32_e32 v1, v1, v9
	v_add_u32_e32 v9, v5, v10
	v_mul_lo_u32 v6, v3, s20
	v_mul_lo_u32 v7, v3, s22
	;; [unrolled: 1-line block ×6, first 2 shown]
	v_lshrrev_b32_e32 v9, s44, v9
	v_add3_u32 v1, v3, v2, v1
	v_add3_u32 v2, v7, v4, v11
	v_mul_hi_u32 v4, s46, v9
	v_add_u32_e32 v4, v9, v4
	v_add3_u32 v0, v6, v0, v10
	v_lshrrev_b32_e32 v6, s47, v4
	v_mul_lo_u32 v3, v9, s18
	v_mul_lo_u32 v4, v6, s45
	s_add_u32 s62, s62, 48
	v_sub_u32_e32 v3, v5, v3
	v_sub_u32_e32 v4, v9, v4
	s_addc_u32 s63, s63, 0
	v_mul_lo_u32 v5, v3, s26
	v_mul_lo_u32 v7, v3, s27
	;; [unrolled: 1-line block ×6, first 2 shown]
	s_cmp_lg_u32 s4, s67
	v_add3_u32 v0, v5, v0, v9
	v_add3_u32 v4, v3, v2, v4
	v_add3_u32 v2, v7, v1, v10
	s_cbranch_scc1 .LBB1_8
; %bb.9:
	v_mov_b32_e32 v1, v4
	s_and_b32 s14, s31, 3
	s_cmp_eq_u32 s14, 0
	s_cbranch_scc0 .LBB1_11
	s_branch .LBB1_13
.LBB1_10:
	v_mov_b32_e32 v2, 0
	s_mov_b32 s4, 0
	v_mov_b32_e32 v1, v2
                                        ; implicit-def: $vgpr4
	v_mov_b32_e32 v6, v8
	v_mov_b32_e32 v0, v2
	s_and_b32 s14, s31, 3
	s_cmp_eq_u32 s14, 0
	s_cbranch_scc1 .LBB1_13
.LBB1_11:
	s_mul_i32 s4, s4, 12
	s_add_u32 s4, s11, s4
	s_addc_u32 s13, s33, 0
	s_add_u32 s12, s4, 4
	s_addc_u32 s13, s13, 0
.LBB1_12:                               ; =>This Inner Loop Header: Depth=1
	s_load_dwordx2 s[16:17], s[12:13], 0x0
	s_load_dword s4, s[12:13], 0x8
	s_load_dwordx2 s[18:19], s[12:13], 0xc0
	s_load_dword s15, s[12:13], 0xc8
	v_mov_b32_e32 v4, v1
	s_waitcnt lgkmcnt(0)
	v_mul_hi_u32 v1, s17, v6
	v_add_u32_e32 v1, v6, v1
	v_lshrrev_b32_e32 v1, s4, v1
	v_mul_lo_u32 v3, v1, s16
	s_add_u32 s12, s12, 12
	v_sub_u32_e32 v3, v6, v3
	s_addc_u32 s13, s13, 0
	s_add_i32 s14, s14, -1
	v_mov_b32_e32 v6, v1
	v_mad_u64_u32 v[0:1], s[16:17], v3, s18, v[0:1]
	v_mad_u64_u32 v[4:5], s[16:17], v3, s15, v[4:5]
	s_cmp_lg_u32 s14, 0
	v_mad_u64_u32 v[2:3], s[16:17], v3, s19, v[2:3]
	v_mov_b32_e32 v1, v4
	s_cbranch_scc1 .LBB1_12
.LBB1_13:
	s_mov_b64 s[12:13], 0
.LBB1_14:
	s_andn2_b64 vcc, exec, s[12:13]
	s_cbranch_vccnz .LBB1_17
; %bb.15:
	v_mul_hi_u32 v0, s6, v8
	v_add_u32_e32 v0, v8, v0
	v_lshrrev_b32_e32 v1, s7, v0
	v_mul_lo_u32 v0, v1, s5
	v_sub_u32_e32 v2, v8, v0
	v_mul_lo_u32 v0, v2, s40
	v_mul_lo_u32 v4, v2, s42
	s_andn2_b64 vcc, exec, s[56:57]
	v_mul_lo_u32 v2, v2, s41
	s_cbranch_vccnz .LBB1_17
; %bb.16:
	v_mul_hi_u32 v3, s9, v1
	v_add_u32_e32 v3, v1, v3
	v_lshrrev_b32_e32 v3, s10, v3
	v_mul_lo_u32 v3, v3, s8
	v_sub_u32_e32 v5, v1, v3
	v_mad_u64_u32 v[0:1], s[12:13], v5, s43, v[0:1]
	v_mad_u64_u32 v[2:3], s[12:13], v5, s54, v[2:3]
	;; [unrolled: 1-line block ×3, first 2 shown]
.LBB1_17:
	s_andn2_b64 vcc, exec, s[52:53]
	s_cbranch_vccnz .LBB1_20
; %bb.18:
	s_waitcnt lgkmcnt(0)
	global_load_ubyte v9, v0, s[36:37]
	v_mov_b32_e32 v1, 0
	v_mov_b32_e32 v3, v1
	v_mov_b32_e32 v5, v1
	v_lshl_add_u64 v[6:7], s[36:37], 0, v[0:1]
	v_lshl_add_u64 v[2:3], s[38:39], 0, v[2:3]
	;; [unrolled: 1-line block ×3, first 2 shown]
	s_ashr_i32 s31, s30, 31
	s_ashr_i32 s13, s29, 31
	s_mov_b32 s12, s29
	s_mov_b32 s4, s28
.LBB1_19:                               ; =>This Inner Loop Header: Depth=1
	global_load_ubyte v4, v[2:3], off
	global_load_ubyte v5, v[0:1], off
	s_add_i32 s4, s4, -1
	v_lshl_add_u64 v[0:1], v[0:1], 0, s[30:31]
	v_lshl_add_u64 v[2:3], v[2:3], 0, s[12:13]
	s_cmp_lg_u32 s4, 0
	s_waitcnt vmcnt(0)
	v_mad_legacy_u16 v9, v5, v4, v9
	global_store_byte v[6:7], v9, off
	s_cbranch_scc1 .LBB1_19
.LBB1_20:
	v_add_u32_e32 v8, 0x100, v8
	s_or_b64 exec, exec, s[60:61]
	v_cmp_gt_i32_e32 vcc, s66, v8
	s_and_saveexec_b64 s[60:61], vcc
	s_cbranch_execz .LBB1_2
.LBB1_21:
	s_and_b64 vcc, exec, s[0:1]
	s_cbranch_vccnz .LBB1_27
; %bb.22:
	v_mov_b32_e32 v4, 0
	s_andn2_b64 vcc, exec, s[2:3]
	v_mov_b32_e32 v2, 0
	v_mov_b32_e32 v0, 0
	s_cbranch_vccnz .LBB1_31
; %bb.23:
	s_add_i32 s31, s65, 1
	s_cmp_eq_u32 s64, 2
	s_cbranch_scc1 .LBB1_28
; %bb.24:
	s_and_b32 s4, s31, 28
	v_mov_b32_e32 v0, 0
	s_mov_b32 s67, 0
	s_mov_b64 s[62:63], s[58:59]
	v_mov_b32_e32 v6, v8
	v_mov_b32_e32 v2, 0
	;; [unrolled: 1-line block ×3, first 2 shown]
.LBB1_25:                               ; =>This Inner Loop Header: Depth=1
	s_load_dwordx8 s[12:19], s[62:63], 0x0
	s_load_dwordx4 s[44:47], s[62:63], 0x20
	s_load_dwordx4 s[48:51], s[62:63], 0xe0
	s_load_dwordx8 s[20:27], s[62:63], 0xc0
	s_add_i32 s67, s67, 4
	s_waitcnt lgkmcnt(0)
	v_mul_hi_u32 v1, s13, v6
	v_add_u32_e32 v1, v6, v1
	v_lshrrev_b32_e32 v1, s14, v1
	v_mul_hi_u32 v5, s16, v1
	v_add_u32_e32 v5, v1, v5
	v_lshrrev_b32_e32 v5, s17, v5
	v_mul_lo_u32 v3, v1, s12
	v_mul_lo_u32 v9, v5, s15
	v_mul_hi_u32 v10, s19, v5
	v_sub_u32_e32 v3, v6, v3
	v_sub_u32_e32 v1, v1, v9
	v_add_u32_e32 v9, v5, v10
	v_mul_lo_u32 v6, v3, s20
	v_mul_lo_u32 v7, v3, s22
	;; [unrolled: 1-line block ×6, first 2 shown]
	v_lshrrev_b32_e32 v9, s44, v9
	v_add3_u32 v1, v3, v2, v1
	v_add3_u32 v2, v7, v4, v11
	v_mul_hi_u32 v4, s46, v9
	v_add_u32_e32 v4, v9, v4
	v_add3_u32 v0, v6, v0, v10
	v_lshrrev_b32_e32 v6, s47, v4
	v_mul_lo_u32 v3, v9, s18
	v_mul_lo_u32 v4, v6, s45
	s_add_u32 s62, s62, 48
	v_sub_u32_e32 v3, v5, v3
	v_sub_u32_e32 v4, v9, v4
	s_addc_u32 s63, s63, 0
	v_mul_lo_u32 v5, v3, s26
	v_mul_lo_u32 v7, v3, s27
	;; [unrolled: 1-line block ×6, first 2 shown]
	s_cmp_eq_u32 s4, s67
	v_add3_u32 v0, v5, v0, v9
	v_add3_u32 v4, v3, v2, v4
	;; [unrolled: 1-line block ×3, first 2 shown]
	s_cbranch_scc0 .LBB1_25
; %bb.26:
	v_mov_b32_e32 v1, v4
	s_and_b32 s14, s31, 3
	s_cmp_eq_u32 s14, 0
	s_cbranch_scc0 .LBB1_29
	s_branch .LBB1_31
.LBB1_27:
                                        ; implicit-def: $vgpr4
                                        ; implicit-def: $vgpr2
                                        ; implicit-def: $vgpr0
	s_branch .LBB1_32
.LBB1_28:
	v_mov_b32_e32 v2, 0
	s_mov_b32 s4, 0
	v_mov_b32_e32 v1, v2
                                        ; implicit-def: $vgpr4
	v_mov_b32_e32 v6, v8
	v_mov_b32_e32 v0, v2
	s_and_b32 s14, s31, 3
	s_cmp_eq_u32 s14, 0
	s_cbranch_scc1 .LBB1_31
.LBB1_29:
	s_mul_i32 s4, s4, 12
	s_add_u32 s4, s11, s4
	s_addc_u32 s13, s33, 0
	s_add_u32 s12, s4, 4
	s_addc_u32 s13, s13, 0
.LBB1_30:                               ; =>This Inner Loop Header: Depth=1
	s_load_dwordx2 s[16:17], s[12:13], 0x0
	s_load_dword s4, s[12:13], 0x8
	s_load_dwordx2 s[18:19], s[12:13], 0xc0
	s_load_dword s15, s[12:13], 0xc8
	v_mov_b32_e32 v4, v1
	s_waitcnt lgkmcnt(0)
	v_mul_hi_u32 v1, s17, v6
	v_add_u32_e32 v1, v6, v1
	v_lshrrev_b32_e32 v1, s4, v1
	v_mul_lo_u32 v3, v1, s16
	s_add_u32 s12, s12, 12
	v_sub_u32_e32 v3, v6, v3
	s_addc_u32 s13, s13, 0
	s_add_i32 s14, s14, -1
	v_mov_b32_e32 v6, v1
	v_mad_u64_u32 v[0:1], s[16:17], v3, s18, v[0:1]
	v_mad_u64_u32 v[4:5], s[16:17], v3, s15, v[4:5]
	s_cmp_lg_u32 s14, 0
	v_mad_u64_u32 v[2:3], s[16:17], v3, s19, v[2:3]
	v_mov_b32_e32 v1, v4
	s_cbranch_scc1 .LBB1_30
.LBB1_31:
	s_cbranch_execnz .LBB1_34
.LBB1_32:
	v_mul_hi_u32 v0, s6, v8
	v_add_u32_e32 v0, v8, v0
	v_lshrrev_b32_e32 v1, s7, v0
	v_mul_lo_u32 v0, v1, s5
	v_sub_u32_e32 v2, v8, v0
	v_mul_lo_u32 v0, v2, s40
	v_mul_lo_u32 v4, v2, s42
	s_andn2_b64 vcc, exec, s[56:57]
	v_mul_lo_u32 v2, v2, s41
	s_cbranch_vccnz .LBB1_34
; %bb.33:
	v_mul_hi_u32 v3, s9, v1
	v_add_u32_e32 v3, v1, v3
	v_lshrrev_b32_e32 v3, s10, v3
	v_mul_lo_u32 v3, v3, s8
	v_sub_u32_e32 v5, v1, v3
	v_mad_u64_u32 v[0:1], s[12:13], v5, s43, v[0:1]
	v_mad_u64_u32 v[2:3], s[12:13], v5, s54, v[2:3]
	;; [unrolled: 1-line block ×3, first 2 shown]
.LBB1_34:
	s_andn2_b64 vcc, exec, s[52:53]
	s_cbranch_vccnz .LBB1_37
; %bb.35:
	s_waitcnt lgkmcnt(0)
	global_load_ubyte v9, v0, s[36:37]
	v_mov_b32_e32 v1, 0
	v_mov_b32_e32 v3, v1
	;; [unrolled: 1-line block ×3, first 2 shown]
	v_lshl_add_u64 v[6:7], s[36:37], 0, v[0:1]
	v_lshl_add_u64 v[2:3], s[38:39], 0, v[2:3]
	;; [unrolled: 1-line block ×3, first 2 shown]
	s_ashr_i32 s31, s30, 31
	s_ashr_i32 s13, s29, 31
	s_mov_b32 s12, s29
	s_mov_b32 s4, s28
.LBB1_36:                               ; =>This Inner Loop Header: Depth=1
	global_load_ubyte v4, v[2:3], off
	global_load_ubyte v5, v[0:1], off
	s_add_i32 s4, s4, -1
	v_lshl_add_u64 v[0:1], v[0:1], 0, s[30:31]
	v_lshl_add_u64 v[2:3], v[2:3], 0, s[12:13]
	s_cmp_lg_u32 s4, 0
	s_waitcnt vmcnt(0)
	v_mad_legacy_u16 v9, v5, v4, v9
	global_store_byte v[6:7], v9, off
	s_cbranch_scc1 .LBB1_36
.LBB1_37:
	v_add_u32_e32 v8, 0x100, v8
	s_or_b64 exec, exec, s[60:61]
	v_cmp_gt_i32_e32 vcc, s66, v8
	s_and_saveexec_b64 s[60:61], vcc
	s_cbranch_execz .LBB1_3
.LBB1_38:
	s_and_b64 vcc, exec, s[0:1]
	s_cbranch_vccnz .LBB1_44
; %bb.39:
	v_mov_b32_e32 v4, 0
	s_andn2_b64 vcc, exec, s[2:3]
	v_mov_b32_e32 v2, 0
	v_mov_b32_e32 v0, 0
	s_cbranch_vccnz .LBB1_48
; %bb.40:
	s_add_i32 s31, s65, 1
	s_cmp_eq_u32 s64, 2
	s_cbranch_scc1 .LBB1_45
; %bb.41:
	s_and_b32 s4, s31, 28
	v_mov_b32_e32 v0, 0
	s_mov_b32 s67, 0
	s_mov_b64 s[62:63], s[58:59]
	v_mov_b32_e32 v6, v8
	v_mov_b32_e32 v2, 0
	;; [unrolled: 1-line block ×3, first 2 shown]
.LBB1_42:                               ; =>This Inner Loop Header: Depth=1
	s_load_dwordx8 s[12:19], s[62:63], 0x0
	s_load_dwordx4 s[44:47], s[62:63], 0x20
	s_load_dwordx4 s[48:51], s[62:63], 0xe0
	s_load_dwordx8 s[20:27], s[62:63], 0xc0
	s_add_i32 s67, s67, 4
	s_waitcnt lgkmcnt(0)
	v_mul_hi_u32 v1, s13, v6
	v_add_u32_e32 v1, v6, v1
	v_lshrrev_b32_e32 v1, s14, v1
	v_mul_hi_u32 v5, s16, v1
	v_add_u32_e32 v5, v1, v5
	v_lshrrev_b32_e32 v5, s17, v5
	v_mul_lo_u32 v3, v1, s12
	v_mul_lo_u32 v9, v5, s15
	v_mul_hi_u32 v10, s19, v5
	v_sub_u32_e32 v3, v6, v3
	v_sub_u32_e32 v1, v1, v9
	v_add_u32_e32 v9, v5, v10
	v_mul_lo_u32 v6, v3, s20
	v_mul_lo_u32 v7, v3, s22
	;; [unrolled: 1-line block ×6, first 2 shown]
	v_lshrrev_b32_e32 v9, s44, v9
	v_add3_u32 v1, v3, v2, v1
	v_add3_u32 v2, v7, v4, v11
	v_mul_hi_u32 v4, s46, v9
	v_add_u32_e32 v4, v9, v4
	v_add3_u32 v0, v6, v0, v10
	v_lshrrev_b32_e32 v6, s47, v4
	v_mul_lo_u32 v3, v9, s18
	v_mul_lo_u32 v4, v6, s45
	s_add_u32 s62, s62, 48
	v_sub_u32_e32 v3, v5, v3
	v_sub_u32_e32 v4, v9, v4
	s_addc_u32 s63, s63, 0
	v_mul_lo_u32 v5, v3, s26
	v_mul_lo_u32 v7, v3, s27
	;; [unrolled: 1-line block ×6, first 2 shown]
	s_cmp_eq_u32 s4, s67
	v_add3_u32 v0, v5, v0, v9
	v_add3_u32 v4, v3, v2, v4
	;; [unrolled: 1-line block ×3, first 2 shown]
	s_cbranch_scc0 .LBB1_42
; %bb.43:
	v_mov_b32_e32 v1, v4
	s_and_b32 s14, s31, 3
	s_cmp_eq_u32 s14, 0
	s_cbranch_scc0 .LBB1_46
	s_branch .LBB1_48
.LBB1_44:
                                        ; implicit-def: $vgpr4
                                        ; implicit-def: $vgpr2
                                        ; implicit-def: $vgpr0
	s_branch .LBB1_49
.LBB1_45:
	v_mov_b32_e32 v2, 0
	s_mov_b32 s4, 0
	v_mov_b32_e32 v1, v2
                                        ; implicit-def: $vgpr4
	v_mov_b32_e32 v6, v8
	v_mov_b32_e32 v0, v2
	s_and_b32 s14, s31, 3
	s_cmp_eq_u32 s14, 0
	s_cbranch_scc1 .LBB1_48
.LBB1_46:
	s_mul_i32 s4, s4, 12
	s_add_u32 s4, s11, s4
	s_addc_u32 s13, s33, 0
	s_add_u32 s12, s4, 4
	s_addc_u32 s13, s13, 0
.LBB1_47:                               ; =>This Inner Loop Header: Depth=1
	s_load_dwordx2 s[16:17], s[12:13], 0x0
	s_load_dword s4, s[12:13], 0x8
	s_load_dwordx2 s[18:19], s[12:13], 0xc0
	s_load_dword s15, s[12:13], 0xc8
	v_mov_b32_e32 v4, v1
	s_waitcnt lgkmcnt(0)
	v_mul_hi_u32 v1, s17, v6
	v_add_u32_e32 v1, v6, v1
	v_lshrrev_b32_e32 v1, s4, v1
	v_mul_lo_u32 v3, v1, s16
	s_add_u32 s12, s12, 12
	v_sub_u32_e32 v3, v6, v3
	s_addc_u32 s13, s13, 0
	s_add_i32 s14, s14, -1
	v_mov_b32_e32 v6, v1
	v_mad_u64_u32 v[0:1], s[16:17], v3, s18, v[0:1]
	v_mad_u64_u32 v[4:5], s[16:17], v3, s15, v[4:5]
	s_cmp_lg_u32 s14, 0
	v_mad_u64_u32 v[2:3], s[16:17], v3, s19, v[2:3]
	v_mov_b32_e32 v1, v4
	s_cbranch_scc1 .LBB1_47
.LBB1_48:
	s_cbranch_execnz .LBB1_51
.LBB1_49:
	v_mul_hi_u32 v0, s6, v8
	v_add_u32_e32 v0, v8, v0
	v_lshrrev_b32_e32 v1, s7, v0
	v_mul_lo_u32 v0, v1, s5
	v_sub_u32_e32 v2, v8, v0
	v_mul_lo_u32 v0, v2, s40
	v_mul_lo_u32 v4, v2, s42
	s_andn2_b64 vcc, exec, s[56:57]
	v_mul_lo_u32 v2, v2, s41
	s_cbranch_vccnz .LBB1_51
; %bb.50:
	v_mul_hi_u32 v3, s9, v1
	v_add_u32_e32 v3, v1, v3
	v_lshrrev_b32_e32 v3, s10, v3
	v_mul_lo_u32 v3, v3, s8
	v_sub_u32_e32 v5, v1, v3
	v_mad_u64_u32 v[0:1], s[12:13], v5, s43, v[0:1]
	v_mad_u64_u32 v[2:3], s[12:13], v5, s54, v[2:3]
	;; [unrolled: 1-line block ×3, first 2 shown]
.LBB1_51:
	s_andn2_b64 vcc, exec, s[52:53]
	s_cbranch_vccnz .LBB1_54
; %bb.52:
	s_waitcnt lgkmcnt(0)
	global_load_ubyte v9, v0, s[36:37]
	v_mov_b32_e32 v1, 0
	v_mov_b32_e32 v3, v1
	;; [unrolled: 1-line block ×3, first 2 shown]
	v_lshl_add_u64 v[6:7], s[36:37], 0, v[0:1]
	v_lshl_add_u64 v[2:3], s[38:39], 0, v[2:3]
	;; [unrolled: 1-line block ×3, first 2 shown]
	s_ashr_i32 s31, s30, 31
	s_ashr_i32 s13, s29, 31
	s_mov_b32 s12, s29
	s_mov_b32 s4, s28
.LBB1_53:                               ; =>This Inner Loop Header: Depth=1
	global_load_ubyte v4, v[2:3], off
	global_load_ubyte v5, v[0:1], off
	s_add_i32 s4, s4, -1
	v_lshl_add_u64 v[0:1], v[0:1], 0, s[30:31]
	v_lshl_add_u64 v[2:3], v[2:3], 0, s[12:13]
	s_cmp_lg_u32 s4, 0
	s_waitcnt vmcnt(0)
	v_mad_legacy_u16 v9, v5, v4, v9
	global_store_byte v[6:7], v9, off
	s_cbranch_scc1 .LBB1_53
.LBB1_54:
	v_add_u32_e32 v8, 0x100, v8
	s_or_b64 exec, exec, s[60:61]
	v_cmp_gt_i32_e32 vcc, s66, v8
	s_and_saveexec_b64 s[12:13], vcc
	s_cbranch_execz .LBB1_71
.LBB1_55:
	s_and_b64 vcc, exec, s[0:1]
	s_cbranch_vccnz .LBB1_61
; %bb.56:
	v_mov_b32_e32 v4, 0
	s_andn2_b64 vcc, exec, s[2:3]
	v_mov_b32_e32 v2, 0
	v_mov_b32_e32 v0, 0
	s_cbranch_vccnz .LBB1_65
; %bb.57:
	s_add_i32 s65, s65, 1
	s_cmp_eq_u32 s64, 2
	s_cbranch_scc1 .LBB1_62
; %bb.58:
	s_and_b32 s4, s65, 28
	v_mov_b32_e32 v0, 0
	s_mov_b32 s31, 0
	v_mov_b32_e32 v6, v8
	v_mov_b32_e32 v2, 0
	;; [unrolled: 1-line block ×3, first 2 shown]
.LBB1_59:                               ; =>This Inner Loop Header: Depth=1
	s_load_dwordx8 s[12:19], s[58:59], 0x0
	s_load_dwordx4 s[0:3], s[58:59], 0x20
	s_load_dwordx4 s[44:47], s[58:59], 0xe0
	s_load_dwordx8 s[20:27], s[58:59], 0xc0
	s_add_i32 s31, s31, 4
	s_waitcnt lgkmcnt(0)
	v_mul_hi_u32 v1, s13, v6
	v_add_u32_e32 v1, v6, v1
	v_lshrrev_b32_e32 v1, s14, v1
	v_mul_hi_u32 v5, s16, v1
	v_add_u32_e32 v5, v1, v5
	v_lshrrev_b32_e32 v5, s17, v5
	v_mul_lo_u32 v3, v1, s12
	v_mul_lo_u32 v9, v5, s15
	v_mul_hi_u32 v10, s19, v5
	v_sub_u32_e32 v3, v6, v3
	v_sub_u32_e32 v1, v1, v9
	v_add_u32_e32 v9, v5, v10
	v_mul_lo_u32 v6, v3, s20
	v_mul_lo_u32 v7, v3, s22
	;; [unrolled: 1-line block ×6, first 2 shown]
	v_lshrrev_b32_e32 v9, s0, v9
	v_add3_u32 v1, v3, v2, v1
	v_add3_u32 v2, v7, v4, v11
	v_mul_hi_u32 v4, s2, v9
	v_add_u32_e32 v4, v9, v4
	v_add3_u32 v0, v6, v0, v10
	v_lshrrev_b32_e32 v6, s3, v4
	v_mul_lo_u32 v3, v9, s18
	v_mul_lo_u32 v4, v6, s1
	s_add_u32 s58, s58, 48
	v_sub_u32_e32 v3, v5, v3
	v_sub_u32_e32 v4, v9, v4
	s_addc_u32 s59, s59, 0
	v_mul_lo_u32 v5, v3, s26
	v_mul_lo_u32 v7, v3, s27
	;; [unrolled: 1-line block ×6, first 2 shown]
	s_cmp_eq_u32 s4, s31
	v_add3_u32 v0, v5, v0, v9
	v_add3_u32 v4, v3, v2, v4
	;; [unrolled: 1-line block ×3, first 2 shown]
	s_cbranch_scc0 .LBB1_59
; %bb.60:
	v_mov_b32_e32 v1, v4
	s_and_b32 s2, s65, 3
	s_cmp_eq_u32 s2, 0
	s_cbranch_scc0 .LBB1_63
	s_branch .LBB1_65
.LBB1_61:
                                        ; implicit-def: $vgpr4
                                        ; implicit-def: $vgpr2
                                        ; implicit-def: $vgpr0
	s_branch .LBB1_66
.LBB1_62:
	v_mov_b32_e32 v2, 0
	s_mov_b32 s4, 0
	v_mov_b32_e32 v1, v2
                                        ; implicit-def: $vgpr4
	v_mov_b32_e32 v6, v8
	v_mov_b32_e32 v0, v2
	s_and_b32 s2, s65, 3
	s_cmp_eq_u32 s2, 0
	s_cbranch_scc1 .LBB1_65
.LBB1_63:
	s_mul_i32 s0, s4, 12
	s_add_u32 s0, s11, s0
	s_addc_u32 s1, s33, 0
	s_add_u32 s0, s0, 4
	s_addc_u32 s1, s1, 0
.LBB1_64:                               ; =>This Inner Loop Header: Depth=1
	s_load_dwordx2 s[12:13], s[0:1], 0x0
	s_load_dword s3, s[0:1], 0x8
	s_load_dwordx2 s[14:15], s[0:1], 0xc0
	s_load_dword s4, s[0:1], 0xc8
	v_mov_b32_e32 v4, v1
	s_waitcnt lgkmcnt(0)
	v_mul_hi_u32 v1, s13, v6
	v_add_u32_e32 v1, v6, v1
	v_lshrrev_b32_e32 v1, s3, v1
	v_mul_lo_u32 v3, v1, s12
	s_add_u32 s0, s0, 12
	v_sub_u32_e32 v3, v6, v3
	s_addc_u32 s1, s1, 0
	s_add_i32 s2, s2, -1
	v_mov_b32_e32 v6, v1
	v_mad_u64_u32 v[0:1], s[12:13], v3, s14, v[0:1]
	v_mad_u64_u32 v[4:5], s[12:13], v3, s4, v[4:5]
	s_cmp_lg_u32 s2, 0
	v_mad_u64_u32 v[2:3], s[12:13], v3, s15, v[2:3]
	v_mov_b32_e32 v1, v4
	s_cbranch_scc1 .LBB1_64
.LBB1_65:
	s_cbranch_execnz .LBB1_68
.LBB1_66:
	v_mul_hi_u32 v0, s6, v8
	v_add_u32_e32 v0, v8, v0
	v_lshrrev_b32_e32 v1, s7, v0
	v_mul_lo_u32 v0, v1, s5
	v_sub_u32_e32 v2, v8, v0
	v_mul_lo_u32 v0, v2, s40
	v_mul_lo_u32 v4, v2, s42
	s_andn2_b64 vcc, exec, s[56:57]
	v_mul_lo_u32 v2, v2, s41
	s_cbranch_vccnz .LBB1_68
; %bb.67:
	v_mul_hi_u32 v3, s9, v1
	v_add_u32_e32 v3, v1, v3
	v_lshrrev_b32_e32 v3, s10, v3
	v_mul_lo_u32 v3, v3, s8
	v_sub_u32_e32 v5, v1, v3
	v_mad_u64_u32 v[0:1], s[0:1], v5, s43, v[0:1]
	v_mad_u64_u32 v[2:3], s[0:1], v5, s54, v[2:3]
	;; [unrolled: 1-line block ×3, first 2 shown]
.LBB1_68:
	s_andn2_b64 vcc, exec, s[52:53]
	s_cbranch_vccnz .LBB1_71
; %bb.69:
	s_waitcnt lgkmcnt(0)
	global_load_ubyte v8, v0, s[36:37]
	v_mov_b32_e32 v1, 0
	v_mov_b32_e32 v3, v1
	;; [unrolled: 1-line block ×3, first 2 shown]
	v_lshl_add_u64 v[6:7], s[36:37], 0, v[0:1]
	v_lshl_add_u64 v[2:3], s[38:39], 0, v[2:3]
	;; [unrolled: 1-line block ×3, first 2 shown]
	s_ashr_i32 s31, s30, 31
	s_ashr_i32 s1, s29, 31
	s_mov_b32 s0, s29
.LBB1_70:                               ; =>This Inner Loop Header: Depth=1
	global_load_ubyte v4, v[2:3], off
	global_load_ubyte v5, v[0:1], off
	s_add_i32 s28, s28, -1
	v_lshl_add_u64 v[0:1], v[0:1], 0, s[30:31]
	v_lshl_add_u64 v[2:3], v[2:3], 0, s[0:1]
	s_cmp_lg_u32 s28, 0
	s_waitcnt vmcnt(0)
	v_mad_legacy_u16 v8, v5, v4, v8
	global_store_byte v[6:7], v8, off
	s_cbranch_scc1 .LBB1_70
.LBB1_71:
	s_endpgm
	.section	.rodata,"a",@progbits
	.p2align	6, 0x0
	.amdhsa_kernel _ZN2at6native12_GLOBAL__N_116_elemwise_kernelILi256ELi4EZNS1_43_compute_linear_combination_internal_kernelIaEEvRNS_14TensorIteratorEiiiEUliE_EEviT1_
		.amdhsa_group_segment_fixed_size 0
		.amdhsa_private_segment_fixed_size 0
		.amdhsa_kernarg_size 440
		.amdhsa_user_sgpr_count 2
		.amdhsa_user_sgpr_dispatch_ptr 0
		.amdhsa_user_sgpr_queue_ptr 0
		.amdhsa_user_sgpr_kernarg_segment_ptr 1
		.amdhsa_user_sgpr_dispatch_id 0
		.amdhsa_user_sgpr_kernarg_preload_length 0
		.amdhsa_user_sgpr_kernarg_preload_offset 0
		.amdhsa_user_sgpr_private_segment_size 0
		.amdhsa_uses_dynamic_stack 0
		.amdhsa_enable_private_segment 0
		.amdhsa_system_sgpr_workgroup_id_x 1
		.amdhsa_system_sgpr_workgroup_id_y 0
		.amdhsa_system_sgpr_workgroup_id_z 0
		.amdhsa_system_sgpr_workgroup_info 0
		.amdhsa_system_vgpr_workitem_id 0
		.amdhsa_next_free_vgpr 12
		.amdhsa_next_free_sgpr 68
		.amdhsa_accum_offset 12
		.amdhsa_reserve_vcc 1
		.amdhsa_float_round_mode_32 0
		.amdhsa_float_round_mode_16_64 0
		.amdhsa_float_denorm_mode_32 3
		.amdhsa_float_denorm_mode_16_64 3
		.amdhsa_dx10_clamp 1
		.amdhsa_ieee_mode 1
		.amdhsa_fp16_overflow 0
		.amdhsa_tg_split 0
		.amdhsa_exception_fp_ieee_invalid_op 0
		.amdhsa_exception_fp_denorm_src 0
		.amdhsa_exception_fp_ieee_div_zero 0
		.amdhsa_exception_fp_ieee_overflow 0
		.amdhsa_exception_fp_ieee_underflow 0
		.amdhsa_exception_fp_ieee_inexact 0
		.amdhsa_exception_int_div_zero 0
	.end_amdhsa_kernel
	.section	.text._ZN2at6native12_GLOBAL__N_116_elemwise_kernelILi256ELi4EZNS1_43_compute_linear_combination_internal_kernelIaEEvRNS_14TensorIteratorEiiiEUliE_EEviT1_,"axG",@progbits,_ZN2at6native12_GLOBAL__N_116_elemwise_kernelILi256ELi4EZNS1_43_compute_linear_combination_internal_kernelIaEEvRNS_14TensorIteratorEiiiEUliE_EEviT1_,comdat
.Lfunc_end1:
	.size	_ZN2at6native12_GLOBAL__N_116_elemwise_kernelILi256ELi4EZNS1_43_compute_linear_combination_internal_kernelIaEEvRNS_14TensorIteratorEiiiEUliE_EEviT1_, .Lfunc_end1-_ZN2at6native12_GLOBAL__N_116_elemwise_kernelILi256ELi4EZNS1_43_compute_linear_combination_internal_kernelIaEEvRNS_14TensorIteratorEiiiEUliE_EEviT1_
                                        ; -- End function
	.set _ZN2at6native12_GLOBAL__N_116_elemwise_kernelILi256ELi4EZNS1_43_compute_linear_combination_internal_kernelIaEEvRNS_14TensorIteratorEiiiEUliE_EEviT1_.num_vgpr, 12
	.set _ZN2at6native12_GLOBAL__N_116_elemwise_kernelILi256ELi4EZNS1_43_compute_linear_combination_internal_kernelIaEEvRNS_14TensorIteratorEiiiEUliE_EEviT1_.num_agpr, 0
	.set _ZN2at6native12_GLOBAL__N_116_elemwise_kernelILi256ELi4EZNS1_43_compute_linear_combination_internal_kernelIaEEvRNS_14TensorIteratorEiiiEUliE_EEviT1_.numbered_sgpr, 68
	.set _ZN2at6native12_GLOBAL__N_116_elemwise_kernelILi256ELi4EZNS1_43_compute_linear_combination_internal_kernelIaEEvRNS_14TensorIteratorEiiiEUliE_EEviT1_.num_named_barrier, 0
	.set _ZN2at6native12_GLOBAL__N_116_elemwise_kernelILi256ELi4EZNS1_43_compute_linear_combination_internal_kernelIaEEvRNS_14TensorIteratorEiiiEUliE_EEviT1_.private_seg_size, 0
	.set _ZN2at6native12_GLOBAL__N_116_elemwise_kernelILi256ELi4EZNS1_43_compute_linear_combination_internal_kernelIaEEvRNS_14TensorIteratorEiiiEUliE_EEviT1_.uses_vcc, 1
	.set _ZN2at6native12_GLOBAL__N_116_elemwise_kernelILi256ELi4EZNS1_43_compute_linear_combination_internal_kernelIaEEvRNS_14TensorIteratorEiiiEUliE_EEviT1_.uses_flat_scratch, 0
	.set _ZN2at6native12_GLOBAL__N_116_elemwise_kernelILi256ELi4EZNS1_43_compute_linear_combination_internal_kernelIaEEvRNS_14TensorIteratorEiiiEUliE_EEviT1_.has_dyn_sized_stack, 0
	.set _ZN2at6native12_GLOBAL__N_116_elemwise_kernelILi256ELi4EZNS1_43_compute_linear_combination_internal_kernelIaEEvRNS_14TensorIteratorEiiiEUliE_EEviT1_.has_recursion, 0
	.set _ZN2at6native12_GLOBAL__N_116_elemwise_kernelILi256ELi4EZNS1_43_compute_linear_combination_internal_kernelIaEEvRNS_14TensorIteratorEiiiEUliE_EEviT1_.has_indirect_call, 0
	.section	.AMDGPU.csdata,"",@progbits
; Kernel info:
; codeLenInByte = 3600
; TotalNumSgprs: 74
; NumVgprs: 12
; NumAgprs: 0
; TotalNumVgprs: 12
; ScratchSize: 0
; MemoryBound: 0
; FloatMode: 240
; IeeeMode: 1
; LDSByteSize: 0 bytes/workgroup (compile time only)
; SGPRBlocks: 9
; VGPRBlocks: 1
; NumSGPRsForWavesPerEU: 74
; NumVGPRsForWavesPerEU: 12
; AccumOffset: 12
; Occupancy: 8
; WaveLimiterHint : 1
; COMPUTE_PGM_RSRC2:SCRATCH_EN: 0
; COMPUTE_PGM_RSRC2:USER_SGPR: 2
; COMPUTE_PGM_RSRC2:TRAP_HANDLER: 0
; COMPUTE_PGM_RSRC2:TGID_X_EN: 1
; COMPUTE_PGM_RSRC2:TGID_Y_EN: 0
; COMPUTE_PGM_RSRC2:TGID_Z_EN: 0
; COMPUTE_PGM_RSRC2:TIDIG_COMP_CNT: 0
; COMPUTE_PGM_RSRC3_GFX90A:ACCUM_OFFSET: 2
; COMPUTE_PGM_RSRC3_GFX90A:TG_SPLIT: 0
	.section	.text._ZN2at6native12_GLOBAL__N_116_elemwise_kernelILi256ELi4EZNS1_43_compute_linear_combination_internal_kernelIiEEvRNS_14TensorIteratorEiiiEUliE_EEviT1_,"axG",@progbits,_ZN2at6native12_GLOBAL__N_116_elemwise_kernelILi256ELi4EZNS1_43_compute_linear_combination_internal_kernelIiEEvRNS_14TensorIteratorEiiiEUliE_EEviT1_,comdat
	.globl	_ZN2at6native12_GLOBAL__N_116_elemwise_kernelILi256ELi4EZNS1_43_compute_linear_combination_internal_kernelIiEEvRNS_14TensorIteratorEiiiEUliE_EEviT1_ ; -- Begin function _ZN2at6native12_GLOBAL__N_116_elemwise_kernelILi256ELi4EZNS1_43_compute_linear_combination_internal_kernelIiEEvRNS_14TensorIteratorEiiiEUliE_EEviT1_
	.p2align	8
	.type	_ZN2at6native12_GLOBAL__N_116_elemwise_kernelILi256ELi4EZNS1_43_compute_linear_combination_internal_kernelIiEEvRNS_14TensorIteratorEiiiEUliE_EEviT1_,@function
_ZN2at6native12_GLOBAL__N_116_elemwise_kernelILi256ELi4EZNS1_43_compute_linear_combination_internal_kernelIiEEvRNS_14TensorIteratorEiiiEUliE_EEviT1_: ; @_ZN2at6native12_GLOBAL__N_116_elemwise_kernelILi256ELi4EZNS1_43_compute_linear_combination_internal_kernelIiEEvRNS_14TensorIteratorEiiiEUliE_EEviT1_
; %bb.0:
	s_load_dword s66, s[0:1], 0x0
	s_load_dwordx8 s[4:11], s[0:1], 0x8
	s_load_dwordx4 s[40:43], s[0:1], 0xcc
	s_load_dwordx2 s[54:55], s[0:1], 0xdc
	s_load_dwordx4 s[28:31], s[0:1], 0x1a8
	v_lshl_or_b32 v10, s2, 10, v0
	s_waitcnt lgkmcnt(0)
	s_add_u32 s11, s0, 8
	s_load_dwordx2 s[34:35], s[0:1], 0x1a0
	s_load_dwordx4 s[36:39], s[0:1], 0x190
	v_sub_co_u32_e64 v0, s[2:3], s4, 1
	s_nop 0
	v_readfirstlane_b32 s64, v0
	s_addc_u32 s33, s1, 0
	s_xor_b64 s[2:3], s[2:3], -1
	s_or_b32 s58, s0, 12
	s_min_u32 s65, s64, 15
	s_mov_b32 s59, s1
	s_cmp_gt_u32 s4, 1
	v_cmp_lt_u32_e64 s[0:1], 1, v0
	s_cselect_b64 s[56:57], -1, 0
	s_cmp_gt_i32 s28, 0
	v_cndmask_b32_e64 v0, 0, 1, s[0:1]
	s_mov_b64 s[12:13], -1
	s_cselect_b64 s[52:53], -1, 0
	v_cmp_gt_i32_e32 vcc, s66, v10
	v_cmp_ne_u32_e64 s[0:1], 1, v0
	s_and_saveexec_b64 s[60:61], vcc
	s_cbranch_execnz .LBB2_4
; %bb.1:
	s_or_b64 exec, exec, s[60:61]
	v_cmp_gt_i32_e32 vcc, s66, v10
	s_and_saveexec_b64 s[60:61], vcc
	s_cbranch_execnz .LBB2_21
.LBB2_2:
	s_or_b64 exec, exec, s[60:61]
	v_cmp_gt_i32_e32 vcc, s66, v10
	s_and_saveexec_b64 s[60:61], vcc
	s_cbranch_execnz .LBB2_38
.LBB2_3:
	s_or_b64 exec, exec, s[60:61]
	v_cmp_gt_i32_e32 vcc, s66, v10
	s_and_saveexec_b64 s[12:13], vcc
	s_cbranch_execnz .LBB2_55
	s_branch .LBB2_71
.LBB2_4:
	s_and_b64 vcc, exec, s[0:1]
                                        ; implicit-def: $vgpr4
                                        ; implicit-def: $vgpr2
                                        ; implicit-def: $vgpr0
	s_cbranch_vccnz .LBB2_14
; %bb.5:
	v_mov_b32_e32 v4, 0
	s_andn2_b64 vcc, exec, s[2:3]
	v_mov_b32_e32 v2, 0
	v_mov_b32_e32 v0, 0
	s_cbranch_vccnz .LBB2_13
; %bb.6:
	s_add_i32 s31, s65, 1
	s_cmp_eq_u32 s64, 2
	s_cbranch_scc1 .LBB2_10
; %bb.7:
	s_and_b32 s4, s31, 28
	v_mov_b32_e32 v0, 0
	s_mov_b32 s67, 0
	s_mov_b64 s[62:63], s[58:59]
	v_mov_b32_e32 v6, v10
	v_mov_b32_e32 v2, 0
	;; [unrolled: 1-line block ×3, first 2 shown]
.LBB2_8:                                ; =>This Inner Loop Header: Depth=1
	s_load_dwordx8 s[12:19], s[62:63], 0x0
	s_load_dwordx4 s[44:47], s[62:63], 0x20
	s_load_dwordx4 s[48:51], s[62:63], 0xe0
	s_load_dwordx8 s[20:27], s[62:63], 0xc0
	s_add_i32 s67, s67, 4
	s_waitcnt lgkmcnt(0)
	v_mul_hi_u32 v1, s13, v6
	v_add_u32_e32 v1, v6, v1
	v_lshrrev_b32_e32 v1, s14, v1
	v_mul_hi_u32 v5, s16, v1
	v_add_u32_e32 v5, v1, v5
	v_lshrrev_b32_e32 v5, s17, v5
	v_mul_lo_u32 v3, v1, s12
	v_mul_lo_u32 v8, v5, s15
	v_mul_hi_u32 v9, s19, v5
	v_sub_u32_e32 v3, v6, v3
	v_sub_u32_e32 v1, v1, v8
	v_add_u32_e32 v8, v5, v9
	v_mul_lo_u32 v6, v3, s20
	v_mul_lo_u32 v7, v3, s22
	;; [unrolled: 1-line block ×6, first 2 shown]
	v_lshrrev_b32_e32 v8, s44, v8
	v_add3_u32 v1, v3, v2, v1
	v_add3_u32 v2, v7, v4, v11
	v_mul_hi_u32 v4, s46, v8
	v_add_u32_e32 v4, v8, v4
	v_add3_u32 v0, v6, v0, v9
	v_lshrrev_b32_e32 v6, s47, v4
	v_mul_lo_u32 v3, v8, s18
	v_mul_lo_u32 v4, v6, s45
	s_add_u32 s62, s62, 48
	v_sub_u32_e32 v3, v5, v3
	v_sub_u32_e32 v4, v8, v4
	s_addc_u32 s63, s63, 0
	v_mul_lo_u32 v5, v3, s26
	v_mul_lo_u32 v7, v3, s27
	v_mul_lo_u32 v3, v3, s48
	v_mul_lo_u32 v8, v4, s49
	v_mul_lo_u32 v9, v4, s50
	v_mul_lo_u32 v4, v4, s51
	s_cmp_lg_u32 s4, s67
	v_add3_u32 v0, v5, v0, v8
	v_add3_u32 v4, v3, v2, v4
	;; [unrolled: 1-line block ×3, first 2 shown]
	s_cbranch_scc1 .LBB2_8
; %bb.9:
	v_mov_b32_e32 v1, v4
	s_and_b32 s14, s31, 3
	s_cmp_eq_u32 s14, 0
	s_cbranch_scc0 .LBB2_11
	s_branch .LBB2_13
.LBB2_10:
	v_mov_b32_e32 v2, 0
	s_mov_b32 s4, 0
	v_mov_b32_e32 v1, v2
                                        ; implicit-def: $vgpr4
	v_mov_b32_e32 v6, v10
	v_mov_b32_e32 v0, v2
	s_and_b32 s14, s31, 3
	s_cmp_eq_u32 s14, 0
	s_cbranch_scc1 .LBB2_13
.LBB2_11:
	s_mul_i32 s4, s4, 12
	s_add_u32 s4, s11, s4
	s_addc_u32 s13, s33, 0
	s_add_u32 s12, s4, 4
	s_addc_u32 s13, s13, 0
.LBB2_12:                               ; =>This Inner Loop Header: Depth=1
	s_load_dwordx2 s[16:17], s[12:13], 0x0
	s_load_dword s4, s[12:13], 0x8
	s_load_dwordx2 s[18:19], s[12:13], 0xc0
	s_load_dword s15, s[12:13], 0xc8
	v_mov_b32_e32 v4, v1
	s_waitcnt lgkmcnt(0)
	v_mul_hi_u32 v1, s17, v6
	v_add_u32_e32 v1, v6, v1
	v_lshrrev_b32_e32 v1, s4, v1
	v_mul_lo_u32 v3, v1, s16
	s_add_u32 s12, s12, 12
	v_sub_u32_e32 v3, v6, v3
	s_addc_u32 s13, s13, 0
	s_add_i32 s14, s14, -1
	v_mov_b32_e32 v6, v1
	v_mad_u64_u32 v[0:1], s[16:17], v3, s18, v[0:1]
	v_mad_u64_u32 v[4:5], s[16:17], v3, s15, v[4:5]
	s_cmp_lg_u32 s14, 0
	v_mad_u64_u32 v[2:3], s[16:17], v3, s19, v[2:3]
	v_mov_b32_e32 v1, v4
	s_cbranch_scc1 .LBB2_12
.LBB2_13:
	s_mov_b64 s[12:13], 0
.LBB2_14:
	s_andn2_b64 vcc, exec, s[12:13]
	s_cbranch_vccnz .LBB2_17
; %bb.15:
	v_mul_hi_u32 v0, s6, v10
	v_add_u32_e32 v0, v10, v0
	v_lshrrev_b32_e32 v1, s7, v0
	v_mul_lo_u32 v0, v1, s5
	v_sub_u32_e32 v2, v10, v0
	v_mul_lo_u32 v0, v2, s40
	v_mul_lo_u32 v4, v2, s42
	s_andn2_b64 vcc, exec, s[56:57]
	v_mul_lo_u32 v2, v2, s41
	s_cbranch_vccnz .LBB2_17
; %bb.16:
	v_mul_hi_u32 v3, s9, v1
	v_add_u32_e32 v3, v1, v3
	v_lshrrev_b32_e32 v3, s10, v3
	v_mul_lo_u32 v3, v3, s8
	v_sub_u32_e32 v5, v1, v3
	v_mad_u64_u32 v[0:1], s[12:13], v5, s43, v[0:1]
	v_mad_u64_u32 v[2:3], s[12:13], v5, s54, v[2:3]
	;; [unrolled: 1-line block ×3, first 2 shown]
.LBB2_17:
	s_andn2_b64 vcc, exec, s[52:53]
	s_cbranch_vccnz .LBB2_20
; %bb.18:
	s_waitcnt lgkmcnt(0)
	global_load_dword v6, v0, s[36:37]
	v_mov_b32_e32 v1, 0
	v_mov_b32_e32 v3, v1
	;; [unrolled: 1-line block ×3, first 2 shown]
	s_ashr_i32 s31, s30, 31
	s_ashr_i32 s15, s29, 31
	s_mov_b32 s14, s29
	v_lshl_add_u64 v[8:9], s[36:37], 0, v[0:1]
	v_lshl_add_u64 v[2:3], s[38:39], 0, v[2:3]
	;; [unrolled: 1-line block ×3, first 2 shown]
	s_lshl_b64 s[12:13], s[30:31], 2
	s_lshl_b64 s[14:15], s[14:15], 2
	s_mov_b32 s4, s28
.LBB2_19:                               ; =>This Inner Loop Header: Depth=1
	global_load_dword v4, v[2:3], off
	global_load_dword v5, v[0:1], off
	s_add_i32 s4, s4, -1
	v_lshl_add_u64 v[0:1], v[0:1], 0, s[12:13]
	v_lshl_add_u64 v[2:3], v[2:3], 0, s[14:15]
	s_cmp_lg_u32 s4, 0
	s_waitcnt vmcnt(0)
	v_mad_u64_u32 v[6:7], s[16:17], v5, v4, v[6:7]
	global_store_dword v[8:9], v6, off
	s_cbranch_scc1 .LBB2_19
.LBB2_20:
	v_add_u32_e32 v10, 0x100, v10
	s_or_b64 exec, exec, s[60:61]
	v_cmp_gt_i32_e32 vcc, s66, v10
	s_and_saveexec_b64 s[60:61], vcc
	s_cbranch_execz .LBB2_2
.LBB2_21:
	s_and_b64 vcc, exec, s[0:1]
	s_cbranch_vccnz .LBB2_27
; %bb.22:
	v_mov_b32_e32 v4, 0
	s_andn2_b64 vcc, exec, s[2:3]
	v_mov_b32_e32 v2, 0
	v_mov_b32_e32 v0, 0
	s_cbranch_vccnz .LBB2_31
; %bb.23:
	s_add_i32 s31, s65, 1
	s_cmp_eq_u32 s64, 2
	s_cbranch_scc1 .LBB2_28
; %bb.24:
	s_and_b32 s4, s31, 28
	v_mov_b32_e32 v0, 0
	s_mov_b32 s67, 0
	s_mov_b64 s[62:63], s[58:59]
	v_mov_b32_e32 v6, v10
	v_mov_b32_e32 v2, 0
	;; [unrolled: 1-line block ×3, first 2 shown]
.LBB2_25:                               ; =>This Inner Loop Header: Depth=1
	s_load_dwordx8 s[12:19], s[62:63], 0x0
	s_load_dwordx4 s[44:47], s[62:63], 0x20
	s_load_dwordx4 s[48:51], s[62:63], 0xe0
	s_load_dwordx8 s[20:27], s[62:63], 0xc0
	s_add_i32 s67, s67, 4
	s_waitcnt lgkmcnt(0)
	v_mul_hi_u32 v1, s13, v6
	v_add_u32_e32 v1, v6, v1
	v_lshrrev_b32_e32 v1, s14, v1
	v_mul_hi_u32 v5, s16, v1
	v_add_u32_e32 v5, v1, v5
	v_lshrrev_b32_e32 v5, s17, v5
	v_mul_lo_u32 v3, v1, s12
	v_mul_lo_u32 v8, v5, s15
	v_mul_hi_u32 v9, s19, v5
	v_sub_u32_e32 v3, v6, v3
	v_sub_u32_e32 v1, v1, v8
	v_add_u32_e32 v8, v5, v9
	v_mul_lo_u32 v6, v3, s20
	v_mul_lo_u32 v7, v3, s22
	;; [unrolled: 1-line block ×6, first 2 shown]
	v_lshrrev_b32_e32 v8, s44, v8
	v_add3_u32 v1, v3, v2, v1
	v_add3_u32 v2, v7, v4, v11
	v_mul_hi_u32 v4, s46, v8
	v_add_u32_e32 v4, v8, v4
	v_add3_u32 v0, v6, v0, v9
	v_lshrrev_b32_e32 v6, s47, v4
	v_mul_lo_u32 v3, v8, s18
	v_mul_lo_u32 v4, v6, s45
	s_add_u32 s62, s62, 48
	v_sub_u32_e32 v3, v5, v3
	v_sub_u32_e32 v4, v8, v4
	s_addc_u32 s63, s63, 0
	v_mul_lo_u32 v5, v3, s26
	v_mul_lo_u32 v7, v3, s27
	;; [unrolled: 1-line block ×6, first 2 shown]
	s_cmp_eq_u32 s4, s67
	v_add3_u32 v0, v5, v0, v8
	v_add3_u32 v4, v3, v2, v4
	;; [unrolled: 1-line block ×3, first 2 shown]
	s_cbranch_scc0 .LBB2_25
; %bb.26:
	v_mov_b32_e32 v1, v4
	s_and_b32 s14, s31, 3
	s_cmp_eq_u32 s14, 0
	s_cbranch_scc0 .LBB2_29
	s_branch .LBB2_31
.LBB2_27:
                                        ; implicit-def: $vgpr4
                                        ; implicit-def: $vgpr2
                                        ; implicit-def: $vgpr0
	s_branch .LBB2_32
.LBB2_28:
	v_mov_b32_e32 v2, 0
	s_mov_b32 s4, 0
	v_mov_b32_e32 v1, v2
                                        ; implicit-def: $vgpr4
	v_mov_b32_e32 v6, v10
	v_mov_b32_e32 v0, v2
	s_and_b32 s14, s31, 3
	s_cmp_eq_u32 s14, 0
	s_cbranch_scc1 .LBB2_31
.LBB2_29:
	s_mul_i32 s4, s4, 12
	s_add_u32 s4, s11, s4
	s_addc_u32 s13, s33, 0
	s_add_u32 s12, s4, 4
	s_addc_u32 s13, s13, 0
.LBB2_30:                               ; =>This Inner Loop Header: Depth=1
	s_load_dwordx2 s[16:17], s[12:13], 0x0
	s_load_dword s4, s[12:13], 0x8
	s_load_dwordx2 s[18:19], s[12:13], 0xc0
	s_load_dword s15, s[12:13], 0xc8
	v_mov_b32_e32 v4, v1
	s_waitcnt lgkmcnt(0)
	v_mul_hi_u32 v1, s17, v6
	v_add_u32_e32 v1, v6, v1
	v_lshrrev_b32_e32 v1, s4, v1
	v_mul_lo_u32 v3, v1, s16
	s_add_u32 s12, s12, 12
	v_sub_u32_e32 v3, v6, v3
	s_addc_u32 s13, s13, 0
	s_add_i32 s14, s14, -1
	v_mov_b32_e32 v6, v1
	v_mad_u64_u32 v[0:1], s[16:17], v3, s18, v[0:1]
	v_mad_u64_u32 v[4:5], s[16:17], v3, s15, v[4:5]
	s_cmp_lg_u32 s14, 0
	v_mad_u64_u32 v[2:3], s[16:17], v3, s19, v[2:3]
	v_mov_b32_e32 v1, v4
	s_cbranch_scc1 .LBB2_30
.LBB2_31:
	s_cbranch_execnz .LBB2_34
.LBB2_32:
	v_mul_hi_u32 v0, s6, v10
	v_add_u32_e32 v0, v10, v0
	v_lshrrev_b32_e32 v1, s7, v0
	v_mul_lo_u32 v0, v1, s5
	v_sub_u32_e32 v2, v10, v0
	v_mul_lo_u32 v0, v2, s40
	v_mul_lo_u32 v4, v2, s42
	s_andn2_b64 vcc, exec, s[56:57]
	v_mul_lo_u32 v2, v2, s41
	s_cbranch_vccnz .LBB2_34
; %bb.33:
	v_mul_hi_u32 v3, s9, v1
	v_add_u32_e32 v3, v1, v3
	v_lshrrev_b32_e32 v3, s10, v3
	v_mul_lo_u32 v3, v3, s8
	v_sub_u32_e32 v5, v1, v3
	v_mad_u64_u32 v[0:1], s[12:13], v5, s43, v[0:1]
	v_mad_u64_u32 v[2:3], s[12:13], v5, s54, v[2:3]
	;; [unrolled: 1-line block ×3, first 2 shown]
.LBB2_34:
	s_andn2_b64 vcc, exec, s[52:53]
	s_cbranch_vccnz .LBB2_37
; %bb.35:
	s_waitcnt lgkmcnt(0)
	global_load_dword v6, v0, s[36:37]
	v_mov_b32_e32 v1, 0
	v_mov_b32_e32 v3, v1
	;; [unrolled: 1-line block ×3, first 2 shown]
	s_ashr_i32 s31, s30, 31
	s_ashr_i32 s15, s29, 31
	s_mov_b32 s14, s29
	v_lshl_add_u64 v[8:9], s[36:37], 0, v[0:1]
	v_lshl_add_u64 v[2:3], s[38:39], 0, v[2:3]
	v_lshl_add_u64 v[0:1], s[34:35], 0, v[4:5]
	s_lshl_b64 s[12:13], s[30:31], 2
	s_lshl_b64 s[14:15], s[14:15], 2
	s_mov_b32 s4, s28
.LBB2_36:                               ; =>This Inner Loop Header: Depth=1
	global_load_dword v4, v[2:3], off
	global_load_dword v5, v[0:1], off
	s_add_i32 s4, s4, -1
	v_lshl_add_u64 v[0:1], v[0:1], 0, s[12:13]
	v_lshl_add_u64 v[2:3], v[2:3], 0, s[14:15]
	s_cmp_lg_u32 s4, 0
	s_waitcnt vmcnt(0)
	v_mad_u64_u32 v[6:7], s[16:17], v5, v4, v[6:7]
	global_store_dword v[8:9], v6, off
	s_cbranch_scc1 .LBB2_36
.LBB2_37:
	v_add_u32_e32 v10, 0x100, v10
	s_or_b64 exec, exec, s[60:61]
	v_cmp_gt_i32_e32 vcc, s66, v10
	s_and_saveexec_b64 s[60:61], vcc
	s_cbranch_execz .LBB2_3
.LBB2_38:
	s_and_b64 vcc, exec, s[0:1]
	s_cbranch_vccnz .LBB2_44
; %bb.39:
	v_mov_b32_e32 v4, 0
	s_andn2_b64 vcc, exec, s[2:3]
	v_mov_b32_e32 v2, 0
	v_mov_b32_e32 v0, 0
	s_cbranch_vccnz .LBB2_48
; %bb.40:
	s_add_i32 s31, s65, 1
	s_cmp_eq_u32 s64, 2
	s_cbranch_scc1 .LBB2_45
; %bb.41:
	s_and_b32 s4, s31, 28
	v_mov_b32_e32 v0, 0
	s_mov_b32 s67, 0
	s_mov_b64 s[62:63], s[58:59]
	v_mov_b32_e32 v6, v10
	v_mov_b32_e32 v2, 0
	;; [unrolled: 1-line block ×3, first 2 shown]
.LBB2_42:                               ; =>This Inner Loop Header: Depth=1
	s_load_dwordx8 s[12:19], s[62:63], 0x0
	s_load_dwordx4 s[44:47], s[62:63], 0x20
	s_load_dwordx4 s[48:51], s[62:63], 0xe0
	s_load_dwordx8 s[20:27], s[62:63], 0xc0
	s_add_i32 s67, s67, 4
	s_waitcnt lgkmcnt(0)
	v_mul_hi_u32 v1, s13, v6
	v_add_u32_e32 v1, v6, v1
	v_lshrrev_b32_e32 v1, s14, v1
	v_mul_hi_u32 v5, s16, v1
	v_add_u32_e32 v5, v1, v5
	v_lshrrev_b32_e32 v5, s17, v5
	v_mul_lo_u32 v3, v1, s12
	v_mul_lo_u32 v8, v5, s15
	v_mul_hi_u32 v9, s19, v5
	v_sub_u32_e32 v3, v6, v3
	v_sub_u32_e32 v1, v1, v8
	v_add_u32_e32 v8, v5, v9
	v_mul_lo_u32 v6, v3, s20
	v_mul_lo_u32 v7, v3, s22
	;; [unrolled: 1-line block ×6, first 2 shown]
	v_lshrrev_b32_e32 v8, s44, v8
	v_add3_u32 v1, v3, v2, v1
	v_add3_u32 v2, v7, v4, v11
	v_mul_hi_u32 v4, s46, v8
	v_add_u32_e32 v4, v8, v4
	v_add3_u32 v0, v6, v0, v9
	v_lshrrev_b32_e32 v6, s47, v4
	v_mul_lo_u32 v3, v8, s18
	v_mul_lo_u32 v4, v6, s45
	s_add_u32 s62, s62, 48
	v_sub_u32_e32 v3, v5, v3
	v_sub_u32_e32 v4, v8, v4
	s_addc_u32 s63, s63, 0
	v_mul_lo_u32 v5, v3, s26
	v_mul_lo_u32 v7, v3, s27
	;; [unrolled: 1-line block ×6, first 2 shown]
	s_cmp_eq_u32 s4, s67
	v_add3_u32 v0, v5, v0, v8
	v_add3_u32 v4, v3, v2, v4
	;; [unrolled: 1-line block ×3, first 2 shown]
	s_cbranch_scc0 .LBB2_42
; %bb.43:
	v_mov_b32_e32 v1, v4
	s_and_b32 s14, s31, 3
	s_cmp_eq_u32 s14, 0
	s_cbranch_scc0 .LBB2_46
	s_branch .LBB2_48
.LBB2_44:
                                        ; implicit-def: $vgpr4
                                        ; implicit-def: $vgpr2
                                        ; implicit-def: $vgpr0
	s_branch .LBB2_49
.LBB2_45:
	v_mov_b32_e32 v2, 0
	s_mov_b32 s4, 0
	v_mov_b32_e32 v1, v2
                                        ; implicit-def: $vgpr4
	v_mov_b32_e32 v6, v10
	v_mov_b32_e32 v0, v2
	s_and_b32 s14, s31, 3
	s_cmp_eq_u32 s14, 0
	s_cbranch_scc1 .LBB2_48
.LBB2_46:
	s_mul_i32 s4, s4, 12
	s_add_u32 s4, s11, s4
	s_addc_u32 s13, s33, 0
	s_add_u32 s12, s4, 4
	s_addc_u32 s13, s13, 0
.LBB2_47:                               ; =>This Inner Loop Header: Depth=1
	s_load_dwordx2 s[16:17], s[12:13], 0x0
	s_load_dword s4, s[12:13], 0x8
	s_load_dwordx2 s[18:19], s[12:13], 0xc0
	s_load_dword s15, s[12:13], 0xc8
	v_mov_b32_e32 v4, v1
	s_waitcnt lgkmcnt(0)
	v_mul_hi_u32 v1, s17, v6
	v_add_u32_e32 v1, v6, v1
	v_lshrrev_b32_e32 v1, s4, v1
	v_mul_lo_u32 v3, v1, s16
	s_add_u32 s12, s12, 12
	v_sub_u32_e32 v3, v6, v3
	s_addc_u32 s13, s13, 0
	s_add_i32 s14, s14, -1
	v_mov_b32_e32 v6, v1
	v_mad_u64_u32 v[0:1], s[16:17], v3, s18, v[0:1]
	v_mad_u64_u32 v[4:5], s[16:17], v3, s15, v[4:5]
	s_cmp_lg_u32 s14, 0
	v_mad_u64_u32 v[2:3], s[16:17], v3, s19, v[2:3]
	v_mov_b32_e32 v1, v4
	s_cbranch_scc1 .LBB2_47
.LBB2_48:
	s_cbranch_execnz .LBB2_51
.LBB2_49:
	v_mul_hi_u32 v0, s6, v10
	v_add_u32_e32 v0, v10, v0
	v_lshrrev_b32_e32 v1, s7, v0
	v_mul_lo_u32 v0, v1, s5
	v_sub_u32_e32 v2, v10, v0
	v_mul_lo_u32 v0, v2, s40
	v_mul_lo_u32 v4, v2, s42
	s_andn2_b64 vcc, exec, s[56:57]
	v_mul_lo_u32 v2, v2, s41
	s_cbranch_vccnz .LBB2_51
; %bb.50:
	v_mul_hi_u32 v3, s9, v1
	v_add_u32_e32 v3, v1, v3
	v_lshrrev_b32_e32 v3, s10, v3
	v_mul_lo_u32 v3, v3, s8
	v_sub_u32_e32 v5, v1, v3
	v_mad_u64_u32 v[0:1], s[12:13], v5, s43, v[0:1]
	v_mad_u64_u32 v[2:3], s[12:13], v5, s54, v[2:3]
	;; [unrolled: 1-line block ×3, first 2 shown]
.LBB2_51:
	s_andn2_b64 vcc, exec, s[52:53]
	s_cbranch_vccnz .LBB2_54
; %bb.52:
	s_waitcnt lgkmcnt(0)
	global_load_dword v6, v0, s[36:37]
	v_mov_b32_e32 v1, 0
	v_mov_b32_e32 v3, v1
	v_mov_b32_e32 v5, v1
	s_ashr_i32 s31, s30, 31
	s_ashr_i32 s15, s29, 31
	s_mov_b32 s14, s29
	v_lshl_add_u64 v[8:9], s[36:37], 0, v[0:1]
	v_lshl_add_u64 v[2:3], s[38:39], 0, v[2:3]
	;; [unrolled: 1-line block ×3, first 2 shown]
	s_lshl_b64 s[12:13], s[30:31], 2
	s_lshl_b64 s[14:15], s[14:15], 2
	s_mov_b32 s4, s28
.LBB2_53:                               ; =>This Inner Loop Header: Depth=1
	global_load_dword v4, v[2:3], off
	global_load_dword v5, v[0:1], off
	s_add_i32 s4, s4, -1
	v_lshl_add_u64 v[0:1], v[0:1], 0, s[12:13]
	v_lshl_add_u64 v[2:3], v[2:3], 0, s[14:15]
	s_cmp_lg_u32 s4, 0
	s_waitcnt vmcnt(0)
	v_mad_u64_u32 v[6:7], s[16:17], v5, v4, v[6:7]
	global_store_dword v[8:9], v6, off
	s_cbranch_scc1 .LBB2_53
.LBB2_54:
	v_add_u32_e32 v10, 0x100, v10
	s_or_b64 exec, exec, s[60:61]
	v_cmp_gt_i32_e32 vcc, s66, v10
	s_and_saveexec_b64 s[12:13], vcc
	s_cbranch_execz .LBB2_71
.LBB2_55:
	s_and_b64 vcc, exec, s[0:1]
	s_cbranch_vccnz .LBB2_61
; %bb.56:
	v_mov_b32_e32 v4, 0
	s_andn2_b64 vcc, exec, s[2:3]
	v_mov_b32_e32 v2, 0
	v_mov_b32_e32 v0, 0
	s_cbranch_vccnz .LBB2_65
; %bb.57:
	s_add_i32 s65, s65, 1
	s_cmp_eq_u32 s64, 2
	s_cbranch_scc1 .LBB2_62
; %bb.58:
	s_and_b32 s4, s65, 28
	v_mov_b32_e32 v0, 0
	s_mov_b32 s31, 0
	v_mov_b32_e32 v6, v10
	v_mov_b32_e32 v2, 0
	;; [unrolled: 1-line block ×3, first 2 shown]
.LBB2_59:                               ; =>This Inner Loop Header: Depth=1
	s_load_dwordx8 s[12:19], s[58:59], 0x0
	s_load_dwordx4 s[0:3], s[58:59], 0x20
	s_load_dwordx4 s[44:47], s[58:59], 0xe0
	s_load_dwordx8 s[20:27], s[58:59], 0xc0
	s_add_i32 s31, s31, 4
	s_waitcnt lgkmcnt(0)
	v_mul_hi_u32 v1, s13, v6
	v_add_u32_e32 v1, v6, v1
	v_lshrrev_b32_e32 v1, s14, v1
	v_mul_hi_u32 v5, s16, v1
	v_add_u32_e32 v5, v1, v5
	v_lshrrev_b32_e32 v5, s17, v5
	v_mul_lo_u32 v3, v1, s12
	v_mul_lo_u32 v8, v5, s15
	v_mul_hi_u32 v9, s19, v5
	v_sub_u32_e32 v3, v6, v3
	v_sub_u32_e32 v1, v1, v8
	v_add_u32_e32 v8, v5, v9
	v_mul_lo_u32 v6, v3, s20
	v_mul_lo_u32 v7, v3, s22
	;; [unrolled: 1-line block ×6, first 2 shown]
	v_lshrrev_b32_e32 v8, s0, v8
	v_add3_u32 v1, v3, v2, v1
	v_add3_u32 v2, v7, v4, v11
	v_mul_hi_u32 v4, s2, v8
	v_add_u32_e32 v4, v8, v4
	v_add3_u32 v0, v6, v0, v9
	v_lshrrev_b32_e32 v6, s3, v4
	v_mul_lo_u32 v3, v8, s18
	v_mul_lo_u32 v4, v6, s1
	s_add_u32 s58, s58, 48
	v_sub_u32_e32 v3, v5, v3
	v_sub_u32_e32 v4, v8, v4
	s_addc_u32 s59, s59, 0
	v_mul_lo_u32 v5, v3, s26
	v_mul_lo_u32 v7, v3, s27
	;; [unrolled: 1-line block ×6, first 2 shown]
	s_cmp_eq_u32 s4, s31
	v_add3_u32 v0, v5, v0, v8
	v_add3_u32 v4, v3, v2, v4
	v_add3_u32 v2, v7, v1, v9
	s_cbranch_scc0 .LBB2_59
; %bb.60:
	v_mov_b32_e32 v1, v4
	s_and_b32 s2, s65, 3
	s_cmp_eq_u32 s2, 0
	s_cbranch_scc0 .LBB2_63
	s_branch .LBB2_65
.LBB2_61:
                                        ; implicit-def: $vgpr4
                                        ; implicit-def: $vgpr2
                                        ; implicit-def: $vgpr0
	s_branch .LBB2_66
.LBB2_62:
	v_mov_b32_e32 v2, 0
	s_mov_b32 s4, 0
	v_mov_b32_e32 v1, v2
                                        ; implicit-def: $vgpr4
	v_mov_b32_e32 v6, v10
	v_mov_b32_e32 v0, v2
	s_and_b32 s2, s65, 3
	s_cmp_eq_u32 s2, 0
	s_cbranch_scc1 .LBB2_65
.LBB2_63:
	s_mul_i32 s0, s4, 12
	s_add_u32 s0, s11, s0
	s_addc_u32 s1, s33, 0
	s_add_u32 s0, s0, 4
	s_addc_u32 s1, s1, 0
.LBB2_64:                               ; =>This Inner Loop Header: Depth=1
	s_load_dwordx2 s[12:13], s[0:1], 0x0
	s_load_dword s3, s[0:1], 0x8
	s_load_dwordx2 s[14:15], s[0:1], 0xc0
	s_load_dword s4, s[0:1], 0xc8
	v_mov_b32_e32 v4, v1
	s_waitcnt lgkmcnt(0)
	v_mul_hi_u32 v1, s13, v6
	v_add_u32_e32 v1, v6, v1
	v_lshrrev_b32_e32 v1, s3, v1
	v_mul_lo_u32 v3, v1, s12
	s_add_u32 s0, s0, 12
	v_sub_u32_e32 v3, v6, v3
	s_addc_u32 s1, s1, 0
	s_add_i32 s2, s2, -1
	v_mov_b32_e32 v6, v1
	v_mad_u64_u32 v[0:1], s[12:13], v3, s14, v[0:1]
	v_mad_u64_u32 v[4:5], s[12:13], v3, s4, v[4:5]
	s_cmp_lg_u32 s2, 0
	v_mad_u64_u32 v[2:3], s[12:13], v3, s15, v[2:3]
	v_mov_b32_e32 v1, v4
	s_cbranch_scc1 .LBB2_64
.LBB2_65:
	s_cbranch_execnz .LBB2_68
.LBB2_66:
	v_mul_hi_u32 v0, s6, v10
	v_add_u32_e32 v0, v10, v0
	v_lshrrev_b32_e32 v1, s7, v0
	v_mul_lo_u32 v0, v1, s5
	v_sub_u32_e32 v2, v10, v0
	v_mul_lo_u32 v0, v2, s40
	v_mul_lo_u32 v4, v2, s42
	s_andn2_b64 vcc, exec, s[56:57]
	v_mul_lo_u32 v2, v2, s41
	s_cbranch_vccnz .LBB2_68
; %bb.67:
	v_mul_hi_u32 v3, s9, v1
	v_add_u32_e32 v3, v1, v3
	v_lshrrev_b32_e32 v3, s10, v3
	v_mul_lo_u32 v3, v3, s8
	v_sub_u32_e32 v5, v1, v3
	v_mad_u64_u32 v[0:1], s[0:1], v5, s43, v[0:1]
	v_mad_u64_u32 v[2:3], s[0:1], v5, s54, v[2:3]
	;; [unrolled: 1-line block ×3, first 2 shown]
.LBB2_68:
	s_andn2_b64 vcc, exec, s[52:53]
	s_cbranch_vccnz .LBB2_71
; %bb.69:
	s_waitcnt lgkmcnt(0)
	global_load_dword v6, v0, s[36:37]
	v_mov_b32_e32 v1, 0
	v_mov_b32_e32 v3, v1
	;; [unrolled: 1-line block ×3, first 2 shown]
	s_ashr_i32 s31, s30, 31
	s_ashr_i32 s3, s29, 31
	s_mov_b32 s2, s29
	v_lshl_add_u64 v[8:9], s[36:37], 0, v[0:1]
	v_lshl_add_u64 v[2:3], s[38:39], 0, v[2:3]
	;; [unrolled: 1-line block ×3, first 2 shown]
	s_lshl_b64 s[0:1], s[30:31], 2
	s_lshl_b64 s[2:3], s[2:3], 2
.LBB2_70:                               ; =>This Inner Loop Header: Depth=1
	global_load_dword v4, v[2:3], off
	global_load_dword v5, v[0:1], off
	s_add_i32 s28, s28, -1
	v_lshl_add_u64 v[0:1], v[0:1], 0, s[0:1]
	v_lshl_add_u64 v[2:3], v[2:3], 0, s[2:3]
	s_cmp_lg_u32 s28, 0
	s_waitcnt vmcnt(0)
	v_mad_u64_u32 v[6:7], s[4:5], v5, v4, v[6:7]
	global_store_dword v[8:9], v6, off
	s_cbranch_scc1 .LBB2_70
.LBB2_71:
	s_endpgm
	.section	.rodata,"a",@progbits
	.p2align	6, 0x0
	.amdhsa_kernel _ZN2at6native12_GLOBAL__N_116_elemwise_kernelILi256ELi4EZNS1_43_compute_linear_combination_internal_kernelIiEEvRNS_14TensorIteratorEiiiEUliE_EEviT1_
		.amdhsa_group_segment_fixed_size 0
		.amdhsa_private_segment_fixed_size 0
		.amdhsa_kernarg_size 440
		.amdhsa_user_sgpr_count 2
		.amdhsa_user_sgpr_dispatch_ptr 0
		.amdhsa_user_sgpr_queue_ptr 0
		.amdhsa_user_sgpr_kernarg_segment_ptr 1
		.amdhsa_user_sgpr_dispatch_id 0
		.amdhsa_user_sgpr_kernarg_preload_length 0
		.amdhsa_user_sgpr_kernarg_preload_offset 0
		.amdhsa_user_sgpr_private_segment_size 0
		.amdhsa_uses_dynamic_stack 0
		.amdhsa_enable_private_segment 0
		.amdhsa_system_sgpr_workgroup_id_x 1
		.amdhsa_system_sgpr_workgroup_id_y 0
		.amdhsa_system_sgpr_workgroup_id_z 0
		.amdhsa_system_sgpr_workgroup_info 0
		.amdhsa_system_vgpr_workitem_id 0
		.amdhsa_next_free_vgpr 12
		.amdhsa_next_free_sgpr 68
		.amdhsa_accum_offset 12
		.amdhsa_reserve_vcc 1
		.amdhsa_float_round_mode_32 0
		.amdhsa_float_round_mode_16_64 0
		.amdhsa_float_denorm_mode_32 3
		.amdhsa_float_denorm_mode_16_64 3
		.amdhsa_dx10_clamp 1
		.amdhsa_ieee_mode 1
		.amdhsa_fp16_overflow 0
		.amdhsa_tg_split 0
		.amdhsa_exception_fp_ieee_invalid_op 0
		.amdhsa_exception_fp_denorm_src 0
		.amdhsa_exception_fp_ieee_div_zero 0
		.amdhsa_exception_fp_ieee_overflow 0
		.amdhsa_exception_fp_ieee_underflow 0
		.amdhsa_exception_fp_ieee_inexact 0
		.amdhsa_exception_int_div_zero 0
	.end_amdhsa_kernel
	.section	.text._ZN2at6native12_GLOBAL__N_116_elemwise_kernelILi256ELi4EZNS1_43_compute_linear_combination_internal_kernelIiEEvRNS_14TensorIteratorEiiiEUliE_EEviT1_,"axG",@progbits,_ZN2at6native12_GLOBAL__N_116_elemwise_kernelILi256ELi4EZNS1_43_compute_linear_combination_internal_kernelIiEEvRNS_14TensorIteratorEiiiEUliE_EEviT1_,comdat
.Lfunc_end2:
	.size	_ZN2at6native12_GLOBAL__N_116_elemwise_kernelILi256ELi4EZNS1_43_compute_linear_combination_internal_kernelIiEEvRNS_14TensorIteratorEiiiEUliE_EEviT1_, .Lfunc_end2-_ZN2at6native12_GLOBAL__N_116_elemwise_kernelILi256ELi4EZNS1_43_compute_linear_combination_internal_kernelIiEEvRNS_14TensorIteratorEiiiEUliE_EEviT1_
                                        ; -- End function
	.set _ZN2at6native12_GLOBAL__N_116_elemwise_kernelILi256ELi4EZNS1_43_compute_linear_combination_internal_kernelIiEEvRNS_14TensorIteratorEiiiEUliE_EEviT1_.num_vgpr, 12
	.set _ZN2at6native12_GLOBAL__N_116_elemwise_kernelILi256ELi4EZNS1_43_compute_linear_combination_internal_kernelIiEEvRNS_14TensorIteratorEiiiEUliE_EEviT1_.num_agpr, 0
	.set _ZN2at6native12_GLOBAL__N_116_elemwise_kernelILi256ELi4EZNS1_43_compute_linear_combination_internal_kernelIiEEvRNS_14TensorIteratorEiiiEUliE_EEviT1_.numbered_sgpr, 68
	.set _ZN2at6native12_GLOBAL__N_116_elemwise_kernelILi256ELi4EZNS1_43_compute_linear_combination_internal_kernelIiEEvRNS_14TensorIteratorEiiiEUliE_EEviT1_.num_named_barrier, 0
	.set _ZN2at6native12_GLOBAL__N_116_elemwise_kernelILi256ELi4EZNS1_43_compute_linear_combination_internal_kernelIiEEvRNS_14TensorIteratorEiiiEUliE_EEviT1_.private_seg_size, 0
	.set _ZN2at6native12_GLOBAL__N_116_elemwise_kernelILi256ELi4EZNS1_43_compute_linear_combination_internal_kernelIiEEvRNS_14TensorIteratorEiiiEUliE_EEviT1_.uses_vcc, 1
	.set _ZN2at6native12_GLOBAL__N_116_elemwise_kernelILi256ELi4EZNS1_43_compute_linear_combination_internal_kernelIiEEvRNS_14TensorIteratorEiiiEUliE_EEviT1_.uses_flat_scratch, 0
	.set _ZN2at6native12_GLOBAL__N_116_elemwise_kernelILi256ELi4EZNS1_43_compute_linear_combination_internal_kernelIiEEvRNS_14TensorIteratorEiiiEUliE_EEviT1_.has_dyn_sized_stack, 0
	.set _ZN2at6native12_GLOBAL__N_116_elemwise_kernelILi256ELi4EZNS1_43_compute_linear_combination_internal_kernelIiEEvRNS_14TensorIteratorEiiiEUliE_EEviT1_.has_recursion, 0
	.set _ZN2at6native12_GLOBAL__N_116_elemwise_kernelILi256ELi4EZNS1_43_compute_linear_combination_internal_kernelIiEEvRNS_14TensorIteratorEiiiEUliE_EEviT1_.has_indirect_call, 0
	.section	.AMDGPU.csdata,"",@progbits
; Kernel info:
; codeLenInByte = 3632
; TotalNumSgprs: 74
; NumVgprs: 12
; NumAgprs: 0
; TotalNumVgprs: 12
; ScratchSize: 0
; MemoryBound: 0
; FloatMode: 240
; IeeeMode: 1
; LDSByteSize: 0 bytes/workgroup (compile time only)
; SGPRBlocks: 9
; VGPRBlocks: 1
; NumSGPRsForWavesPerEU: 74
; NumVGPRsForWavesPerEU: 12
; AccumOffset: 12
; Occupancy: 8
; WaveLimiterHint : 1
; COMPUTE_PGM_RSRC2:SCRATCH_EN: 0
; COMPUTE_PGM_RSRC2:USER_SGPR: 2
; COMPUTE_PGM_RSRC2:TRAP_HANDLER: 0
; COMPUTE_PGM_RSRC2:TGID_X_EN: 1
; COMPUTE_PGM_RSRC2:TGID_Y_EN: 0
; COMPUTE_PGM_RSRC2:TGID_Z_EN: 0
; COMPUTE_PGM_RSRC2:TIDIG_COMP_CNT: 0
; COMPUTE_PGM_RSRC3_GFX90A:ACCUM_OFFSET: 2
; COMPUTE_PGM_RSRC3_GFX90A:TG_SPLIT: 0
	.section	.text._ZN2at6native12_GLOBAL__N_116_elemwise_kernelILi256ELi4EZNS1_43_compute_linear_combination_internal_kernelIlEEvRNS_14TensorIteratorEiiiEUliE_EEviT1_,"axG",@progbits,_ZN2at6native12_GLOBAL__N_116_elemwise_kernelILi256ELi4EZNS1_43_compute_linear_combination_internal_kernelIlEEvRNS_14TensorIteratorEiiiEUliE_EEviT1_,comdat
	.globl	_ZN2at6native12_GLOBAL__N_116_elemwise_kernelILi256ELi4EZNS1_43_compute_linear_combination_internal_kernelIlEEvRNS_14TensorIteratorEiiiEUliE_EEviT1_ ; -- Begin function _ZN2at6native12_GLOBAL__N_116_elemwise_kernelILi256ELi4EZNS1_43_compute_linear_combination_internal_kernelIlEEvRNS_14TensorIteratorEiiiEUliE_EEviT1_
	.p2align	8
	.type	_ZN2at6native12_GLOBAL__N_116_elemwise_kernelILi256ELi4EZNS1_43_compute_linear_combination_internal_kernelIlEEvRNS_14TensorIteratorEiiiEUliE_EEviT1_,@function
_ZN2at6native12_GLOBAL__N_116_elemwise_kernelILi256ELi4EZNS1_43_compute_linear_combination_internal_kernelIlEEvRNS_14TensorIteratorEiiiEUliE_EEviT1_: ; @_ZN2at6native12_GLOBAL__N_116_elemwise_kernelILi256ELi4EZNS1_43_compute_linear_combination_internal_kernelIlEEvRNS_14TensorIteratorEiiiEUliE_EEviT1_
; %bb.0:
	s_load_dword s66, s[0:1], 0x0
	s_load_dwordx8 s[4:11], s[0:1], 0x8
	s_load_dwordx4 s[40:43], s[0:1], 0xcc
	s_load_dwordx2 s[54:55], s[0:1], 0xdc
	s_load_dwordx4 s[28:31], s[0:1], 0x1a8
	v_lshl_or_b32 v10, s2, 10, v0
	s_waitcnt lgkmcnt(0)
	s_add_u32 s11, s0, 8
	s_load_dwordx2 s[34:35], s[0:1], 0x1a0
	s_load_dwordx4 s[36:39], s[0:1], 0x190
	v_sub_co_u32_e64 v0, s[2:3], s4, 1
	s_nop 0
	v_readfirstlane_b32 s64, v0
	s_addc_u32 s33, s1, 0
	s_xor_b64 s[2:3], s[2:3], -1
	s_or_b32 s58, s0, 12
	s_min_u32 s65, s64, 15
	s_mov_b32 s59, s1
	s_cmp_gt_u32 s4, 1
	v_cmp_lt_u32_e64 s[0:1], 1, v0
	s_cselect_b64 s[56:57], -1, 0
	s_cmp_gt_i32 s28, 0
	v_cndmask_b32_e64 v0, 0, 1, s[0:1]
	s_mov_b64 s[12:13], -1
	s_cselect_b64 s[52:53], -1, 0
	v_cmp_gt_i32_e32 vcc, s66, v10
	v_cmp_ne_u32_e64 s[0:1], 1, v0
	s_and_saveexec_b64 s[60:61], vcc
	s_cbranch_execnz .LBB3_4
; %bb.1:
	s_or_b64 exec, exec, s[60:61]
	v_cmp_gt_i32_e32 vcc, s66, v10
	s_and_saveexec_b64 s[60:61], vcc
	s_cbranch_execnz .LBB3_21
.LBB3_2:
	s_or_b64 exec, exec, s[60:61]
	v_cmp_gt_i32_e32 vcc, s66, v10
	s_and_saveexec_b64 s[60:61], vcc
	s_cbranch_execnz .LBB3_38
.LBB3_3:
	s_or_b64 exec, exec, s[60:61]
	v_cmp_gt_i32_e32 vcc, s66, v10
	s_and_saveexec_b64 s[12:13], vcc
	s_cbranch_execnz .LBB3_55
	s_branch .LBB3_71
.LBB3_4:
	s_and_b64 vcc, exec, s[0:1]
                                        ; implicit-def: $vgpr4
                                        ; implicit-def: $vgpr2
                                        ; implicit-def: $vgpr0
	s_cbranch_vccnz .LBB3_14
; %bb.5:
	v_mov_b32_e32 v4, 0
	s_andn2_b64 vcc, exec, s[2:3]
	v_mov_b32_e32 v2, 0
	v_mov_b32_e32 v0, 0
	s_cbranch_vccnz .LBB3_13
; %bb.6:
	s_add_i32 s31, s65, 1
	s_cmp_eq_u32 s64, 2
	s_cbranch_scc1 .LBB3_10
; %bb.7:
	s_and_b32 s4, s31, 28
	v_mov_b32_e32 v0, 0
	s_mov_b32 s67, 0
	s_mov_b64 s[62:63], s[58:59]
	v_mov_b32_e32 v6, v10
	v_mov_b32_e32 v2, 0
	;; [unrolled: 1-line block ×3, first 2 shown]
.LBB3_8:                                ; =>This Inner Loop Header: Depth=1
	s_load_dwordx8 s[12:19], s[62:63], 0x0
	s_load_dwordx4 s[44:47], s[62:63], 0x20
	s_load_dwordx4 s[48:51], s[62:63], 0xe0
	s_load_dwordx8 s[20:27], s[62:63], 0xc0
	s_add_i32 s67, s67, 4
	s_waitcnt lgkmcnt(0)
	v_mul_hi_u32 v1, s13, v6
	v_add_u32_e32 v1, v6, v1
	v_lshrrev_b32_e32 v1, s14, v1
	v_mul_hi_u32 v5, s16, v1
	v_add_u32_e32 v5, v1, v5
	v_lshrrev_b32_e32 v5, s17, v5
	v_mul_lo_u32 v3, v1, s12
	v_mul_lo_u32 v8, v5, s15
	v_mul_hi_u32 v9, s19, v5
	v_sub_u32_e32 v3, v6, v3
	v_sub_u32_e32 v1, v1, v8
	v_add_u32_e32 v8, v5, v9
	v_mul_lo_u32 v6, v3, s20
	v_mul_lo_u32 v7, v3, s22
	;; [unrolled: 1-line block ×6, first 2 shown]
	v_lshrrev_b32_e32 v8, s44, v8
	v_add3_u32 v1, v3, v2, v1
	v_add3_u32 v2, v7, v4, v11
	v_mul_hi_u32 v4, s46, v8
	v_add_u32_e32 v4, v8, v4
	v_add3_u32 v0, v6, v0, v9
	v_lshrrev_b32_e32 v6, s47, v4
	v_mul_lo_u32 v3, v8, s18
	v_mul_lo_u32 v4, v6, s45
	s_add_u32 s62, s62, 48
	v_sub_u32_e32 v3, v5, v3
	v_sub_u32_e32 v4, v8, v4
	s_addc_u32 s63, s63, 0
	v_mul_lo_u32 v5, v3, s26
	v_mul_lo_u32 v7, v3, s27
	;; [unrolled: 1-line block ×6, first 2 shown]
	s_cmp_lg_u32 s4, s67
	v_add3_u32 v0, v5, v0, v8
	v_add3_u32 v4, v3, v2, v4
	;; [unrolled: 1-line block ×3, first 2 shown]
	s_cbranch_scc1 .LBB3_8
; %bb.9:
	v_mov_b32_e32 v1, v4
	s_and_b32 s14, s31, 3
	s_cmp_eq_u32 s14, 0
	s_cbranch_scc0 .LBB3_11
	s_branch .LBB3_13
.LBB3_10:
	v_mov_b32_e32 v2, 0
	s_mov_b32 s4, 0
	v_mov_b32_e32 v1, v2
                                        ; implicit-def: $vgpr4
	v_mov_b32_e32 v6, v10
	v_mov_b32_e32 v0, v2
	s_and_b32 s14, s31, 3
	s_cmp_eq_u32 s14, 0
	s_cbranch_scc1 .LBB3_13
.LBB3_11:
	s_mul_i32 s4, s4, 12
	s_add_u32 s4, s11, s4
	s_addc_u32 s13, s33, 0
	s_add_u32 s12, s4, 4
	s_addc_u32 s13, s13, 0
.LBB3_12:                               ; =>This Inner Loop Header: Depth=1
	s_load_dwordx2 s[16:17], s[12:13], 0x0
	s_load_dword s4, s[12:13], 0x8
	s_load_dwordx2 s[18:19], s[12:13], 0xc0
	s_load_dword s15, s[12:13], 0xc8
	v_mov_b32_e32 v4, v1
	s_waitcnt lgkmcnt(0)
	v_mul_hi_u32 v1, s17, v6
	v_add_u32_e32 v1, v6, v1
	v_lshrrev_b32_e32 v1, s4, v1
	v_mul_lo_u32 v3, v1, s16
	s_add_u32 s12, s12, 12
	v_sub_u32_e32 v3, v6, v3
	s_addc_u32 s13, s13, 0
	s_add_i32 s14, s14, -1
	v_mov_b32_e32 v6, v1
	v_mad_u64_u32 v[0:1], s[16:17], v3, s18, v[0:1]
	v_mad_u64_u32 v[4:5], s[16:17], v3, s15, v[4:5]
	s_cmp_lg_u32 s14, 0
	v_mad_u64_u32 v[2:3], s[16:17], v3, s19, v[2:3]
	v_mov_b32_e32 v1, v4
	s_cbranch_scc1 .LBB3_12
.LBB3_13:
	s_mov_b64 s[12:13], 0
.LBB3_14:
	s_andn2_b64 vcc, exec, s[12:13]
	s_cbranch_vccnz .LBB3_17
; %bb.15:
	v_mul_hi_u32 v0, s6, v10
	v_add_u32_e32 v0, v10, v0
	v_lshrrev_b32_e32 v1, s7, v0
	v_mul_lo_u32 v0, v1, s5
	v_sub_u32_e32 v2, v10, v0
	v_mul_lo_u32 v0, v2, s40
	v_mul_lo_u32 v4, v2, s42
	s_andn2_b64 vcc, exec, s[56:57]
	v_mul_lo_u32 v2, v2, s41
	s_cbranch_vccnz .LBB3_17
; %bb.16:
	v_mul_hi_u32 v3, s9, v1
	v_add_u32_e32 v3, v1, v3
	v_lshrrev_b32_e32 v3, s10, v3
	v_mul_lo_u32 v3, v3, s8
	v_sub_u32_e32 v5, v1, v3
	v_mad_u64_u32 v[0:1], s[12:13], v5, s43, v[0:1]
	v_mad_u64_u32 v[2:3], s[12:13], v5, s54, v[2:3]
	;; [unrolled: 1-line block ×3, first 2 shown]
.LBB3_17:
	s_andn2_b64 vcc, exec, s[52:53]
	s_cbranch_vccnz .LBB3_20
; %bb.18:
	s_waitcnt lgkmcnt(0)
	global_load_dwordx2 v[6:7], v0, s[36:37]
	v_mov_b32_e32 v1, 0
	v_mov_b32_e32 v3, v1
	;; [unrolled: 1-line block ×3, first 2 shown]
	s_ashr_i32 s31, s30, 31
	s_ashr_i32 s15, s29, 31
	s_mov_b32 s14, s29
	v_lshl_add_u64 v[8:9], s[36:37], 0, v[0:1]
	v_lshl_add_u64 v[2:3], s[38:39], 0, v[2:3]
	v_lshl_add_u64 v[0:1], s[34:35], 0, v[4:5]
	s_lshl_b64 s[12:13], s[30:31], 3
	s_lshl_b64 s[14:15], s[14:15], 3
	s_mov_b32 s4, s28
.LBB3_19:                               ; =>This Inner Loop Header: Depth=1
	global_load_dwordx2 v[4:5], v[2:3], off
	global_load_dwordx2 v[12:13], v[0:1], off
	s_add_i32 s4, s4, -1
	v_lshl_add_u64 v[0:1], v[0:1], 0, s[12:13]
	v_lshl_add_u64 v[2:3], v[2:3], 0, s[14:15]
	s_cmp_lg_u32 s4, 0
	s_waitcnt vmcnt(0)
	v_mad_u64_u32 v[6:7], s[16:17], v12, v4, v[6:7]
	v_mul_lo_u32 v5, v12, v5
	v_mul_lo_u32 v4, v13, v4
	v_add3_u32 v7, v4, v7, v5
	global_store_dwordx2 v[8:9], v[6:7], off
	s_cbranch_scc1 .LBB3_19
.LBB3_20:
	v_add_u32_e32 v10, 0x100, v10
	s_or_b64 exec, exec, s[60:61]
	v_cmp_gt_i32_e32 vcc, s66, v10
	s_and_saveexec_b64 s[60:61], vcc
	s_cbranch_execz .LBB3_2
.LBB3_21:
	s_and_b64 vcc, exec, s[0:1]
	s_cbranch_vccnz .LBB3_27
; %bb.22:
	v_mov_b32_e32 v4, 0
	s_andn2_b64 vcc, exec, s[2:3]
	v_mov_b32_e32 v2, 0
	v_mov_b32_e32 v0, 0
	s_cbranch_vccnz .LBB3_31
; %bb.23:
	s_add_i32 s31, s65, 1
	s_cmp_eq_u32 s64, 2
	s_cbranch_scc1 .LBB3_28
; %bb.24:
	s_and_b32 s4, s31, 28
	v_mov_b32_e32 v0, 0
	s_mov_b32 s67, 0
	s_mov_b64 s[62:63], s[58:59]
	v_mov_b32_e32 v6, v10
	v_mov_b32_e32 v2, 0
	;; [unrolled: 1-line block ×3, first 2 shown]
.LBB3_25:                               ; =>This Inner Loop Header: Depth=1
	s_load_dwordx8 s[12:19], s[62:63], 0x0
	s_load_dwordx4 s[44:47], s[62:63], 0x20
	s_load_dwordx4 s[48:51], s[62:63], 0xe0
	s_load_dwordx8 s[20:27], s[62:63], 0xc0
	s_add_i32 s67, s67, 4
	s_waitcnt lgkmcnt(0)
	v_mul_hi_u32 v1, s13, v6
	v_add_u32_e32 v1, v6, v1
	v_lshrrev_b32_e32 v1, s14, v1
	v_mul_hi_u32 v5, s16, v1
	v_add_u32_e32 v5, v1, v5
	v_lshrrev_b32_e32 v5, s17, v5
	v_mul_lo_u32 v3, v1, s12
	v_mul_lo_u32 v8, v5, s15
	v_mul_hi_u32 v9, s19, v5
	v_sub_u32_e32 v3, v6, v3
	v_sub_u32_e32 v1, v1, v8
	v_add_u32_e32 v8, v5, v9
	v_mul_lo_u32 v6, v3, s20
	v_mul_lo_u32 v7, v3, s22
	;; [unrolled: 1-line block ×6, first 2 shown]
	v_lshrrev_b32_e32 v8, s44, v8
	v_add3_u32 v1, v3, v2, v1
	v_add3_u32 v2, v7, v4, v11
	v_mul_hi_u32 v4, s46, v8
	v_add_u32_e32 v4, v8, v4
	v_add3_u32 v0, v6, v0, v9
	v_lshrrev_b32_e32 v6, s47, v4
	v_mul_lo_u32 v3, v8, s18
	v_mul_lo_u32 v4, v6, s45
	s_add_u32 s62, s62, 48
	v_sub_u32_e32 v3, v5, v3
	v_sub_u32_e32 v4, v8, v4
	s_addc_u32 s63, s63, 0
	v_mul_lo_u32 v5, v3, s26
	v_mul_lo_u32 v7, v3, s27
	;; [unrolled: 1-line block ×6, first 2 shown]
	s_cmp_eq_u32 s4, s67
	v_add3_u32 v0, v5, v0, v8
	v_add3_u32 v4, v3, v2, v4
	;; [unrolled: 1-line block ×3, first 2 shown]
	s_cbranch_scc0 .LBB3_25
; %bb.26:
	v_mov_b32_e32 v1, v4
	s_and_b32 s14, s31, 3
	s_cmp_eq_u32 s14, 0
	s_cbranch_scc0 .LBB3_29
	s_branch .LBB3_31
.LBB3_27:
                                        ; implicit-def: $vgpr4
                                        ; implicit-def: $vgpr2
                                        ; implicit-def: $vgpr0
	s_branch .LBB3_32
.LBB3_28:
	v_mov_b32_e32 v2, 0
	s_mov_b32 s4, 0
	v_mov_b32_e32 v1, v2
                                        ; implicit-def: $vgpr4
	v_mov_b32_e32 v6, v10
	v_mov_b32_e32 v0, v2
	s_and_b32 s14, s31, 3
	s_cmp_eq_u32 s14, 0
	s_cbranch_scc1 .LBB3_31
.LBB3_29:
	s_mul_i32 s4, s4, 12
	s_add_u32 s4, s11, s4
	s_addc_u32 s13, s33, 0
	s_add_u32 s12, s4, 4
	s_addc_u32 s13, s13, 0
.LBB3_30:                               ; =>This Inner Loop Header: Depth=1
	s_load_dwordx2 s[16:17], s[12:13], 0x0
	s_load_dword s4, s[12:13], 0x8
	s_load_dwordx2 s[18:19], s[12:13], 0xc0
	s_load_dword s15, s[12:13], 0xc8
	v_mov_b32_e32 v4, v1
	s_waitcnt lgkmcnt(0)
	v_mul_hi_u32 v1, s17, v6
	v_add_u32_e32 v1, v6, v1
	v_lshrrev_b32_e32 v1, s4, v1
	v_mul_lo_u32 v3, v1, s16
	s_add_u32 s12, s12, 12
	v_sub_u32_e32 v3, v6, v3
	s_addc_u32 s13, s13, 0
	s_add_i32 s14, s14, -1
	v_mov_b32_e32 v6, v1
	v_mad_u64_u32 v[0:1], s[16:17], v3, s18, v[0:1]
	v_mad_u64_u32 v[4:5], s[16:17], v3, s15, v[4:5]
	s_cmp_lg_u32 s14, 0
	v_mad_u64_u32 v[2:3], s[16:17], v3, s19, v[2:3]
	v_mov_b32_e32 v1, v4
	s_cbranch_scc1 .LBB3_30
.LBB3_31:
	s_cbranch_execnz .LBB3_34
.LBB3_32:
	v_mul_hi_u32 v0, s6, v10
	v_add_u32_e32 v0, v10, v0
	v_lshrrev_b32_e32 v1, s7, v0
	v_mul_lo_u32 v0, v1, s5
	v_sub_u32_e32 v2, v10, v0
	v_mul_lo_u32 v0, v2, s40
	v_mul_lo_u32 v4, v2, s42
	s_andn2_b64 vcc, exec, s[56:57]
	v_mul_lo_u32 v2, v2, s41
	s_cbranch_vccnz .LBB3_34
; %bb.33:
	v_mul_hi_u32 v3, s9, v1
	v_add_u32_e32 v3, v1, v3
	v_lshrrev_b32_e32 v3, s10, v3
	v_mul_lo_u32 v3, v3, s8
	v_sub_u32_e32 v5, v1, v3
	v_mad_u64_u32 v[0:1], s[12:13], v5, s43, v[0:1]
	v_mad_u64_u32 v[2:3], s[12:13], v5, s54, v[2:3]
	;; [unrolled: 1-line block ×3, first 2 shown]
.LBB3_34:
	s_andn2_b64 vcc, exec, s[52:53]
	s_cbranch_vccnz .LBB3_37
; %bb.35:
	s_waitcnt lgkmcnt(0)
	global_load_dwordx2 v[6:7], v0, s[36:37]
	v_mov_b32_e32 v1, 0
	v_mov_b32_e32 v3, v1
	;; [unrolled: 1-line block ×3, first 2 shown]
	s_ashr_i32 s31, s30, 31
	s_ashr_i32 s15, s29, 31
	s_mov_b32 s14, s29
	v_lshl_add_u64 v[8:9], s[36:37], 0, v[0:1]
	v_lshl_add_u64 v[2:3], s[38:39], 0, v[2:3]
	;; [unrolled: 1-line block ×3, first 2 shown]
	s_lshl_b64 s[12:13], s[30:31], 3
	s_lshl_b64 s[14:15], s[14:15], 3
	s_mov_b32 s4, s28
.LBB3_36:                               ; =>This Inner Loop Header: Depth=1
	global_load_dwordx2 v[4:5], v[2:3], off
	global_load_dwordx2 v[12:13], v[0:1], off
	s_add_i32 s4, s4, -1
	v_lshl_add_u64 v[0:1], v[0:1], 0, s[12:13]
	v_lshl_add_u64 v[2:3], v[2:3], 0, s[14:15]
	s_cmp_lg_u32 s4, 0
	s_waitcnt vmcnt(0)
	v_mad_u64_u32 v[6:7], s[16:17], v12, v4, v[6:7]
	v_mul_lo_u32 v5, v12, v5
	v_mul_lo_u32 v4, v13, v4
	v_add3_u32 v7, v4, v7, v5
	global_store_dwordx2 v[8:9], v[6:7], off
	s_cbranch_scc1 .LBB3_36
.LBB3_37:
	v_add_u32_e32 v10, 0x100, v10
	s_or_b64 exec, exec, s[60:61]
	v_cmp_gt_i32_e32 vcc, s66, v10
	s_and_saveexec_b64 s[60:61], vcc
	s_cbranch_execz .LBB3_3
.LBB3_38:
	s_and_b64 vcc, exec, s[0:1]
	s_cbranch_vccnz .LBB3_44
; %bb.39:
	v_mov_b32_e32 v4, 0
	s_andn2_b64 vcc, exec, s[2:3]
	v_mov_b32_e32 v2, 0
	v_mov_b32_e32 v0, 0
	s_cbranch_vccnz .LBB3_48
; %bb.40:
	s_add_i32 s31, s65, 1
	s_cmp_eq_u32 s64, 2
	s_cbranch_scc1 .LBB3_45
; %bb.41:
	s_and_b32 s4, s31, 28
	v_mov_b32_e32 v0, 0
	s_mov_b32 s67, 0
	s_mov_b64 s[62:63], s[58:59]
	v_mov_b32_e32 v6, v10
	v_mov_b32_e32 v2, 0
	v_mov_b32_e32 v4, 0
.LBB3_42:                               ; =>This Inner Loop Header: Depth=1
	s_load_dwordx8 s[12:19], s[62:63], 0x0
	s_load_dwordx4 s[44:47], s[62:63], 0x20
	s_load_dwordx4 s[48:51], s[62:63], 0xe0
	s_load_dwordx8 s[20:27], s[62:63], 0xc0
	s_add_i32 s67, s67, 4
	s_waitcnt lgkmcnt(0)
	v_mul_hi_u32 v1, s13, v6
	v_add_u32_e32 v1, v6, v1
	v_lshrrev_b32_e32 v1, s14, v1
	v_mul_hi_u32 v5, s16, v1
	v_add_u32_e32 v5, v1, v5
	v_lshrrev_b32_e32 v5, s17, v5
	v_mul_lo_u32 v3, v1, s12
	v_mul_lo_u32 v8, v5, s15
	v_mul_hi_u32 v9, s19, v5
	v_sub_u32_e32 v3, v6, v3
	v_sub_u32_e32 v1, v1, v8
	v_add_u32_e32 v8, v5, v9
	v_mul_lo_u32 v6, v3, s20
	v_mul_lo_u32 v7, v3, s22
	;; [unrolled: 1-line block ×6, first 2 shown]
	v_lshrrev_b32_e32 v8, s44, v8
	v_add3_u32 v1, v3, v2, v1
	v_add3_u32 v2, v7, v4, v11
	v_mul_hi_u32 v4, s46, v8
	v_add_u32_e32 v4, v8, v4
	v_add3_u32 v0, v6, v0, v9
	v_lshrrev_b32_e32 v6, s47, v4
	v_mul_lo_u32 v3, v8, s18
	v_mul_lo_u32 v4, v6, s45
	s_add_u32 s62, s62, 48
	v_sub_u32_e32 v3, v5, v3
	v_sub_u32_e32 v4, v8, v4
	s_addc_u32 s63, s63, 0
	v_mul_lo_u32 v5, v3, s26
	v_mul_lo_u32 v7, v3, s27
	;; [unrolled: 1-line block ×6, first 2 shown]
	s_cmp_eq_u32 s4, s67
	v_add3_u32 v0, v5, v0, v8
	v_add3_u32 v4, v3, v2, v4
	v_add3_u32 v2, v7, v1, v9
	s_cbranch_scc0 .LBB3_42
; %bb.43:
	v_mov_b32_e32 v1, v4
	s_and_b32 s14, s31, 3
	s_cmp_eq_u32 s14, 0
	s_cbranch_scc0 .LBB3_46
	s_branch .LBB3_48
.LBB3_44:
                                        ; implicit-def: $vgpr4
                                        ; implicit-def: $vgpr2
                                        ; implicit-def: $vgpr0
	s_branch .LBB3_49
.LBB3_45:
	v_mov_b32_e32 v2, 0
	s_mov_b32 s4, 0
	v_mov_b32_e32 v1, v2
                                        ; implicit-def: $vgpr4
	v_mov_b32_e32 v6, v10
	v_mov_b32_e32 v0, v2
	s_and_b32 s14, s31, 3
	s_cmp_eq_u32 s14, 0
	s_cbranch_scc1 .LBB3_48
.LBB3_46:
	s_mul_i32 s4, s4, 12
	s_add_u32 s4, s11, s4
	s_addc_u32 s13, s33, 0
	s_add_u32 s12, s4, 4
	s_addc_u32 s13, s13, 0
.LBB3_47:                               ; =>This Inner Loop Header: Depth=1
	s_load_dwordx2 s[16:17], s[12:13], 0x0
	s_load_dword s4, s[12:13], 0x8
	s_load_dwordx2 s[18:19], s[12:13], 0xc0
	s_load_dword s15, s[12:13], 0xc8
	v_mov_b32_e32 v4, v1
	s_waitcnt lgkmcnt(0)
	v_mul_hi_u32 v1, s17, v6
	v_add_u32_e32 v1, v6, v1
	v_lshrrev_b32_e32 v1, s4, v1
	v_mul_lo_u32 v3, v1, s16
	s_add_u32 s12, s12, 12
	v_sub_u32_e32 v3, v6, v3
	s_addc_u32 s13, s13, 0
	s_add_i32 s14, s14, -1
	v_mov_b32_e32 v6, v1
	v_mad_u64_u32 v[0:1], s[16:17], v3, s18, v[0:1]
	v_mad_u64_u32 v[4:5], s[16:17], v3, s15, v[4:5]
	s_cmp_lg_u32 s14, 0
	v_mad_u64_u32 v[2:3], s[16:17], v3, s19, v[2:3]
	v_mov_b32_e32 v1, v4
	s_cbranch_scc1 .LBB3_47
.LBB3_48:
	s_cbranch_execnz .LBB3_51
.LBB3_49:
	v_mul_hi_u32 v0, s6, v10
	v_add_u32_e32 v0, v10, v0
	v_lshrrev_b32_e32 v1, s7, v0
	v_mul_lo_u32 v0, v1, s5
	v_sub_u32_e32 v2, v10, v0
	v_mul_lo_u32 v0, v2, s40
	v_mul_lo_u32 v4, v2, s42
	s_andn2_b64 vcc, exec, s[56:57]
	v_mul_lo_u32 v2, v2, s41
	s_cbranch_vccnz .LBB3_51
; %bb.50:
	v_mul_hi_u32 v3, s9, v1
	v_add_u32_e32 v3, v1, v3
	v_lshrrev_b32_e32 v3, s10, v3
	v_mul_lo_u32 v3, v3, s8
	v_sub_u32_e32 v5, v1, v3
	v_mad_u64_u32 v[0:1], s[12:13], v5, s43, v[0:1]
	v_mad_u64_u32 v[2:3], s[12:13], v5, s54, v[2:3]
	;; [unrolled: 1-line block ×3, first 2 shown]
.LBB3_51:
	s_andn2_b64 vcc, exec, s[52:53]
	s_cbranch_vccnz .LBB3_54
; %bb.52:
	s_waitcnt lgkmcnt(0)
	global_load_dwordx2 v[6:7], v0, s[36:37]
	v_mov_b32_e32 v1, 0
	v_mov_b32_e32 v3, v1
	;; [unrolled: 1-line block ×3, first 2 shown]
	s_ashr_i32 s31, s30, 31
	s_ashr_i32 s15, s29, 31
	s_mov_b32 s14, s29
	v_lshl_add_u64 v[8:9], s[36:37], 0, v[0:1]
	v_lshl_add_u64 v[2:3], s[38:39], 0, v[2:3]
	;; [unrolled: 1-line block ×3, first 2 shown]
	s_lshl_b64 s[12:13], s[30:31], 3
	s_lshl_b64 s[14:15], s[14:15], 3
	s_mov_b32 s4, s28
.LBB3_53:                               ; =>This Inner Loop Header: Depth=1
	global_load_dwordx2 v[4:5], v[2:3], off
	global_load_dwordx2 v[12:13], v[0:1], off
	s_add_i32 s4, s4, -1
	v_lshl_add_u64 v[0:1], v[0:1], 0, s[12:13]
	v_lshl_add_u64 v[2:3], v[2:3], 0, s[14:15]
	s_cmp_lg_u32 s4, 0
	s_waitcnt vmcnt(0)
	v_mad_u64_u32 v[6:7], s[16:17], v12, v4, v[6:7]
	v_mul_lo_u32 v5, v12, v5
	v_mul_lo_u32 v4, v13, v4
	v_add3_u32 v7, v4, v7, v5
	global_store_dwordx2 v[8:9], v[6:7], off
	s_cbranch_scc1 .LBB3_53
.LBB3_54:
	v_add_u32_e32 v10, 0x100, v10
	s_or_b64 exec, exec, s[60:61]
	v_cmp_gt_i32_e32 vcc, s66, v10
	s_and_saveexec_b64 s[12:13], vcc
	s_cbranch_execz .LBB3_71
.LBB3_55:
	s_and_b64 vcc, exec, s[0:1]
	s_cbranch_vccnz .LBB3_61
; %bb.56:
	v_mov_b32_e32 v4, 0
	s_andn2_b64 vcc, exec, s[2:3]
	v_mov_b32_e32 v2, 0
	v_mov_b32_e32 v0, 0
	s_cbranch_vccnz .LBB3_65
; %bb.57:
	s_add_i32 s65, s65, 1
	s_cmp_eq_u32 s64, 2
	s_cbranch_scc1 .LBB3_62
; %bb.58:
	s_and_b32 s4, s65, 28
	v_mov_b32_e32 v0, 0
	s_mov_b32 s31, 0
	v_mov_b32_e32 v6, v10
	v_mov_b32_e32 v2, 0
	;; [unrolled: 1-line block ×3, first 2 shown]
.LBB3_59:                               ; =>This Inner Loop Header: Depth=1
	s_load_dwordx8 s[12:19], s[58:59], 0x0
	s_load_dwordx4 s[0:3], s[58:59], 0x20
	s_load_dwordx4 s[44:47], s[58:59], 0xe0
	s_load_dwordx8 s[20:27], s[58:59], 0xc0
	s_add_i32 s31, s31, 4
	s_waitcnt lgkmcnt(0)
	v_mul_hi_u32 v1, s13, v6
	v_add_u32_e32 v1, v6, v1
	v_lshrrev_b32_e32 v1, s14, v1
	v_mul_hi_u32 v5, s16, v1
	v_add_u32_e32 v5, v1, v5
	v_lshrrev_b32_e32 v5, s17, v5
	v_mul_lo_u32 v3, v1, s12
	v_mul_lo_u32 v8, v5, s15
	v_mul_hi_u32 v9, s19, v5
	v_sub_u32_e32 v3, v6, v3
	v_sub_u32_e32 v1, v1, v8
	v_add_u32_e32 v8, v5, v9
	v_mul_lo_u32 v6, v3, s20
	v_mul_lo_u32 v7, v3, s22
	;; [unrolled: 1-line block ×6, first 2 shown]
	v_lshrrev_b32_e32 v8, s0, v8
	v_add3_u32 v1, v3, v2, v1
	v_add3_u32 v2, v7, v4, v11
	v_mul_hi_u32 v4, s2, v8
	v_add_u32_e32 v4, v8, v4
	v_add3_u32 v0, v6, v0, v9
	v_lshrrev_b32_e32 v6, s3, v4
	v_mul_lo_u32 v3, v8, s18
	v_mul_lo_u32 v4, v6, s1
	s_add_u32 s58, s58, 48
	v_sub_u32_e32 v3, v5, v3
	v_sub_u32_e32 v4, v8, v4
	s_addc_u32 s59, s59, 0
	v_mul_lo_u32 v5, v3, s26
	v_mul_lo_u32 v7, v3, s27
	;; [unrolled: 1-line block ×6, first 2 shown]
	s_cmp_eq_u32 s4, s31
	v_add3_u32 v0, v5, v0, v8
	v_add3_u32 v4, v3, v2, v4
	;; [unrolled: 1-line block ×3, first 2 shown]
	s_cbranch_scc0 .LBB3_59
; %bb.60:
	v_mov_b32_e32 v1, v4
	s_and_b32 s2, s65, 3
	s_cmp_eq_u32 s2, 0
	s_cbranch_scc0 .LBB3_63
	s_branch .LBB3_65
.LBB3_61:
                                        ; implicit-def: $vgpr4
                                        ; implicit-def: $vgpr2
                                        ; implicit-def: $vgpr0
	s_branch .LBB3_66
.LBB3_62:
	v_mov_b32_e32 v2, 0
	s_mov_b32 s4, 0
	v_mov_b32_e32 v1, v2
                                        ; implicit-def: $vgpr4
	v_mov_b32_e32 v6, v10
	v_mov_b32_e32 v0, v2
	s_and_b32 s2, s65, 3
	s_cmp_eq_u32 s2, 0
	s_cbranch_scc1 .LBB3_65
.LBB3_63:
	s_mul_i32 s0, s4, 12
	s_add_u32 s0, s11, s0
	s_addc_u32 s1, s33, 0
	s_add_u32 s0, s0, 4
	s_addc_u32 s1, s1, 0
.LBB3_64:                               ; =>This Inner Loop Header: Depth=1
	s_load_dwordx2 s[12:13], s[0:1], 0x0
	s_load_dword s3, s[0:1], 0x8
	s_load_dwordx2 s[14:15], s[0:1], 0xc0
	s_load_dword s4, s[0:1], 0xc8
	v_mov_b32_e32 v4, v1
	s_waitcnt lgkmcnt(0)
	v_mul_hi_u32 v1, s13, v6
	v_add_u32_e32 v1, v6, v1
	v_lshrrev_b32_e32 v1, s3, v1
	v_mul_lo_u32 v3, v1, s12
	s_add_u32 s0, s0, 12
	v_sub_u32_e32 v3, v6, v3
	s_addc_u32 s1, s1, 0
	s_add_i32 s2, s2, -1
	v_mov_b32_e32 v6, v1
	v_mad_u64_u32 v[0:1], s[12:13], v3, s14, v[0:1]
	v_mad_u64_u32 v[4:5], s[12:13], v3, s4, v[4:5]
	s_cmp_lg_u32 s2, 0
	v_mad_u64_u32 v[2:3], s[12:13], v3, s15, v[2:3]
	v_mov_b32_e32 v1, v4
	s_cbranch_scc1 .LBB3_64
.LBB3_65:
	s_cbranch_execnz .LBB3_68
.LBB3_66:
	v_mul_hi_u32 v0, s6, v10
	v_add_u32_e32 v0, v10, v0
	v_lshrrev_b32_e32 v1, s7, v0
	v_mul_lo_u32 v0, v1, s5
	v_sub_u32_e32 v2, v10, v0
	v_mul_lo_u32 v0, v2, s40
	v_mul_lo_u32 v4, v2, s42
	s_andn2_b64 vcc, exec, s[56:57]
	v_mul_lo_u32 v2, v2, s41
	s_cbranch_vccnz .LBB3_68
; %bb.67:
	v_mul_hi_u32 v3, s9, v1
	v_add_u32_e32 v3, v1, v3
	v_lshrrev_b32_e32 v3, s10, v3
	v_mul_lo_u32 v3, v3, s8
	v_sub_u32_e32 v5, v1, v3
	v_mad_u64_u32 v[0:1], s[0:1], v5, s43, v[0:1]
	v_mad_u64_u32 v[2:3], s[0:1], v5, s54, v[2:3]
	;; [unrolled: 1-line block ×3, first 2 shown]
.LBB3_68:
	s_andn2_b64 vcc, exec, s[52:53]
	s_cbranch_vccnz .LBB3_71
; %bb.69:
	s_waitcnt lgkmcnt(0)
	global_load_dwordx2 v[6:7], v0, s[36:37]
	v_mov_b32_e32 v1, 0
	v_mov_b32_e32 v3, v1
	;; [unrolled: 1-line block ×3, first 2 shown]
	s_ashr_i32 s31, s30, 31
	s_ashr_i32 s3, s29, 31
	s_mov_b32 s2, s29
	v_lshl_add_u64 v[8:9], s[36:37], 0, v[0:1]
	v_lshl_add_u64 v[2:3], s[38:39], 0, v[2:3]
	;; [unrolled: 1-line block ×3, first 2 shown]
	s_lshl_b64 s[0:1], s[30:31], 3
	s_lshl_b64 s[2:3], s[2:3], 3
.LBB3_70:                               ; =>This Inner Loop Header: Depth=1
	global_load_dwordx2 v[4:5], v[2:3], off
	global_load_dwordx2 v[10:11], v[0:1], off
	s_add_i32 s28, s28, -1
	v_lshl_add_u64 v[0:1], v[0:1], 0, s[0:1]
	v_lshl_add_u64 v[2:3], v[2:3], 0, s[2:3]
	s_cmp_lg_u32 s28, 0
	s_waitcnt vmcnt(0)
	v_mad_u64_u32 v[6:7], s[4:5], v10, v4, v[6:7]
	v_mul_lo_u32 v5, v10, v5
	v_mul_lo_u32 v4, v11, v4
	v_add3_u32 v7, v4, v7, v5
	global_store_dwordx2 v[8:9], v[6:7], off
	s_cbranch_scc1 .LBB3_70
.LBB3_71:
	s_endpgm
	.section	.rodata,"a",@progbits
	.p2align	6, 0x0
	.amdhsa_kernel _ZN2at6native12_GLOBAL__N_116_elemwise_kernelILi256ELi4EZNS1_43_compute_linear_combination_internal_kernelIlEEvRNS_14TensorIteratorEiiiEUliE_EEviT1_
		.amdhsa_group_segment_fixed_size 0
		.amdhsa_private_segment_fixed_size 0
		.amdhsa_kernarg_size 440
		.amdhsa_user_sgpr_count 2
		.amdhsa_user_sgpr_dispatch_ptr 0
		.amdhsa_user_sgpr_queue_ptr 0
		.amdhsa_user_sgpr_kernarg_segment_ptr 1
		.amdhsa_user_sgpr_dispatch_id 0
		.amdhsa_user_sgpr_kernarg_preload_length 0
		.amdhsa_user_sgpr_kernarg_preload_offset 0
		.amdhsa_user_sgpr_private_segment_size 0
		.amdhsa_uses_dynamic_stack 0
		.amdhsa_enable_private_segment 0
		.amdhsa_system_sgpr_workgroup_id_x 1
		.amdhsa_system_sgpr_workgroup_id_y 0
		.amdhsa_system_sgpr_workgroup_id_z 0
		.amdhsa_system_sgpr_workgroup_info 0
		.amdhsa_system_vgpr_workitem_id 0
		.amdhsa_next_free_vgpr 14
		.amdhsa_next_free_sgpr 68
		.amdhsa_accum_offset 16
		.amdhsa_reserve_vcc 1
		.amdhsa_float_round_mode_32 0
		.amdhsa_float_round_mode_16_64 0
		.amdhsa_float_denorm_mode_32 3
		.amdhsa_float_denorm_mode_16_64 3
		.amdhsa_dx10_clamp 1
		.amdhsa_ieee_mode 1
		.amdhsa_fp16_overflow 0
		.amdhsa_tg_split 0
		.amdhsa_exception_fp_ieee_invalid_op 0
		.amdhsa_exception_fp_denorm_src 0
		.amdhsa_exception_fp_ieee_div_zero 0
		.amdhsa_exception_fp_ieee_overflow 0
		.amdhsa_exception_fp_ieee_underflow 0
		.amdhsa_exception_fp_ieee_inexact 0
		.amdhsa_exception_int_div_zero 0
	.end_amdhsa_kernel
	.section	.text._ZN2at6native12_GLOBAL__N_116_elemwise_kernelILi256ELi4EZNS1_43_compute_linear_combination_internal_kernelIlEEvRNS_14TensorIteratorEiiiEUliE_EEviT1_,"axG",@progbits,_ZN2at6native12_GLOBAL__N_116_elemwise_kernelILi256ELi4EZNS1_43_compute_linear_combination_internal_kernelIlEEvRNS_14TensorIteratorEiiiEUliE_EEviT1_,comdat
.Lfunc_end3:
	.size	_ZN2at6native12_GLOBAL__N_116_elemwise_kernelILi256ELi4EZNS1_43_compute_linear_combination_internal_kernelIlEEvRNS_14TensorIteratorEiiiEUliE_EEviT1_, .Lfunc_end3-_ZN2at6native12_GLOBAL__N_116_elemwise_kernelILi256ELi4EZNS1_43_compute_linear_combination_internal_kernelIlEEvRNS_14TensorIteratorEiiiEUliE_EEviT1_
                                        ; -- End function
	.set _ZN2at6native12_GLOBAL__N_116_elemwise_kernelILi256ELi4EZNS1_43_compute_linear_combination_internal_kernelIlEEvRNS_14TensorIteratorEiiiEUliE_EEviT1_.num_vgpr, 14
	.set _ZN2at6native12_GLOBAL__N_116_elemwise_kernelILi256ELi4EZNS1_43_compute_linear_combination_internal_kernelIlEEvRNS_14TensorIteratorEiiiEUliE_EEviT1_.num_agpr, 0
	.set _ZN2at6native12_GLOBAL__N_116_elemwise_kernelILi256ELi4EZNS1_43_compute_linear_combination_internal_kernelIlEEvRNS_14TensorIteratorEiiiEUliE_EEviT1_.numbered_sgpr, 68
	.set _ZN2at6native12_GLOBAL__N_116_elemwise_kernelILi256ELi4EZNS1_43_compute_linear_combination_internal_kernelIlEEvRNS_14TensorIteratorEiiiEUliE_EEviT1_.num_named_barrier, 0
	.set _ZN2at6native12_GLOBAL__N_116_elemwise_kernelILi256ELi4EZNS1_43_compute_linear_combination_internal_kernelIlEEvRNS_14TensorIteratorEiiiEUliE_EEviT1_.private_seg_size, 0
	.set _ZN2at6native12_GLOBAL__N_116_elemwise_kernelILi256ELi4EZNS1_43_compute_linear_combination_internal_kernelIlEEvRNS_14TensorIteratorEiiiEUliE_EEviT1_.uses_vcc, 1
	.set _ZN2at6native12_GLOBAL__N_116_elemwise_kernelILi256ELi4EZNS1_43_compute_linear_combination_internal_kernelIlEEvRNS_14TensorIteratorEiiiEUliE_EEviT1_.uses_flat_scratch, 0
	.set _ZN2at6native12_GLOBAL__N_116_elemwise_kernelILi256ELi4EZNS1_43_compute_linear_combination_internal_kernelIlEEvRNS_14TensorIteratorEiiiEUliE_EEviT1_.has_dyn_sized_stack, 0
	.set _ZN2at6native12_GLOBAL__N_116_elemwise_kernelILi256ELi4EZNS1_43_compute_linear_combination_internal_kernelIlEEvRNS_14TensorIteratorEiiiEUliE_EEviT1_.has_recursion, 0
	.set _ZN2at6native12_GLOBAL__N_116_elemwise_kernelILi256ELi4EZNS1_43_compute_linear_combination_internal_kernelIlEEvRNS_14TensorIteratorEiiiEUliE_EEviT1_.has_indirect_call, 0
	.section	.AMDGPU.csdata,"",@progbits
; Kernel info:
; codeLenInByte = 3728
; TotalNumSgprs: 74
; NumVgprs: 14
; NumAgprs: 0
; TotalNumVgprs: 14
; ScratchSize: 0
; MemoryBound: 0
; FloatMode: 240
; IeeeMode: 1
; LDSByteSize: 0 bytes/workgroup (compile time only)
; SGPRBlocks: 9
; VGPRBlocks: 1
; NumSGPRsForWavesPerEU: 74
; NumVGPRsForWavesPerEU: 14
; AccumOffset: 16
; Occupancy: 8
; WaveLimiterHint : 1
; COMPUTE_PGM_RSRC2:SCRATCH_EN: 0
; COMPUTE_PGM_RSRC2:USER_SGPR: 2
; COMPUTE_PGM_RSRC2:TRAP_HANDLER: 0
; COMPUTE_PGM_RSRC2:TGID_X_EN: 1
; COMPUTE_PGM_RSRC2:TGID_Y_EN: 0
; COMPUTE_PGM_RSRC2:TGID_Z_EN: 0
; COMPUTE_PGM_RSRC2:TIDIG_COMP_CNT: 0
; COMPUTE_PGM_RSRC3_GFX90A:ACCUM_OFFSET: 3
; COMPUTE_PGM_RSRC3_GFX90A:TG_SPLIT: 0
	.section	.text._ZN2at6native12_GLOBAL__N_116_elemwise_kernelILi256ELi4EZNS1_43_compute_linear_combination_internal_kernelIsEEvRNS_14TensorIteratorEiiiEUliE_EEviT1_,"axG",@progbits,_ZN2at6native12_GLOBAL__N_116_elemwise_kernelILi256ELi4EZNS1_43_compute_linear_combination_internal_kernelIsEEvRNS_14TensorIteratorEiiiEUliE_EEviT1_,comdat
	.globl	_ZN2at6native12_GLOBAL__N_116_elemwise_kernelILi256ELi4EZNS1_43_compute_linear_combination_internal_kernelIsEEvRNS_14TensorIteratorEiiiEUliE_EEviT1_ ; -- Begin function _ZN2at6native12_GLOBAL__N_116_elemwise_kernelILi256ELi4EZNS1_43_compute_linear_combination_internal_kernelIsEEvRNS_14TensorIteratorEiiiEUliE_EEviT1_
	.p2align	8
	.type	_ZN2at6native12_GLOBAL__N_116_elemwise_kernelILi256ELi4EZNS1_43_compute_linear_combination_internal_kernelIsEEvRNS_14TensorIteratorEiiiEUliE_EEviT1_,@function
_ZN2at6native12_GLOBAL__N_116_elemwise_kernelILi256ELi4EZNS1_43_compute_linear_combination_internal_kernelIsEEvRNS_14TensorIteratorEiiiEUliE_EEviT1_: ; @_ZN2at6native12_GLOBAL__N_116_elemwise_kernelILi256ELi4EZNS1_43_compute_linear_combination_internal_kernelIsEEvRNS_14TensorIteratorEiiiEUliE_EEviT1_
; %bb.0:
	s_load_dword s66, s[0:1], 0x0
	s_load_dwordx8 s[4:11], s[0:1], 0x8
	s_load_dwordx4 s[40:43], s[0:1], 0xcc
	s_load_dwordx2 s[54:55], s[0:1], 0xdc
	s_load_dwordx4 s[28:31], s[0:1], 0x1a8
	v_lshl_or_b32 v8, s2, 10, v0
	s_waitcnt lgkmcnt(0)
	s_add_u32 s11, s0, 8
	s_load_dwordx2 s[34:35], s[0:1], 0x1a0
	s_load_dwordx4 s[36:39], s[0:1], 0x190
	v_sub_co_u32_e64 v0, s[2:3], s4, 1
	s_nop 0
	v_readfirstlane_b32 s64, v0
	s_addc_u32 s33, s1, 0
	s_xor_b64 s[2:3], s[2:3], -1
	s_or_b32 s58, s0, 12
	s_min_u32 s65, s64, 15
	s_mov_b32 s59, s1
	s_cmp_gt_u32 s4, 1
	v_cmp_lt_u32_e64 s[0:1], 1, v0
	s_cselect_b64 s[56:57], -1, 0
	s_cmp_gt_i32 s28, 0
	v_cndmask_b32_e64 v0, 0, 1, s[0:1]
	s_mov_b64 s[12:13], -1
	s_cselect_b64 s[52:53], -1, 0
	v_cmp_gt_i32_e32 vcc, s66, v8
	v_cmp_ne_u32_e64 s[0:1], 1, v0
	s_and_saveexec_b64 s[60:61], vcc
	s_cbranch_execnz .LBB4_4
; %bb.1:
	s_or_b64 exec, exec, s[60:61]
	v_cmp_gt_i32_e32 vcc, s66, v8
	s_and_saveexec_b64 s[60:61], vcc
	s_cbranch_execnz .LBB4_21
.LBB4_2:
	s_or_b64 exec, exec, s[60:61]
	v_cmp_gt_i32_e32 vcc, s66, v8
	s_and_saveexec_b64 s[60:61], vcc
	s_cbranch_execnz .LBB4_38
.LBB4_3:
	s_or_b64 exec, exec, s[60:61]
	v_cmp_gt_i32_e32 vcc, s66, v8
	s_and_saveexec_b64 s[12:13], vcc
	s_cbranch_execnz .LBB4_55
	s_branch .LBB4_71
.LBB4_4:
	s_and_b64 vcc, exec, s[0:1]
                                        ; implicit-def: $vgpr4
                                        ; implicit-def: $vgpr2
                                        ; implicit-def: $vgpr0
	s_cbranch_vccnz .LBB4_14
; %bb.5:
	v_mov_b32_e32 v4, 0
	s_andn2_b64 vcc, exec, s[2:3]
	v_mov_b32_e32 v2, 0
	v_mov_b32_e32 v0, 0
	s_cbranch_vccnz .LBB4_13
; %bb.6:
	s_add_i32 s31, s65, 1
	s_cmp_eq_u32 s64, 2
	s_cbranch_scc1 .LBB4_10
; %bb.7:
	s_and_b32 s4, s31, 28
	v_mov_b32_e32 v0, 0
	s_mov_b32 s67, 0
	s_mov_b64 s[62:63], s[58:59]
	v_mov_b32_e32 v6, v8
	v_mov_b32_e32 v2, 0
	;; [unrolled: 1-line block ×3, first 2 shown]
.LBB4_8:                                ; =>This Inner Loop Header: Depth=1
	s_load_dwordx8 s[12:19], s[62:63], 0x0
	s_load_dwordx4 s[44:47], s[62:63], 0x20
	s_load_dwordx4 s[48:51], s[62:63], 0xe0
	s_load_dwordx8 s[20:27], s[62:63], 0xc0
	s_add_i32 s67, s67, 4
	s_waitcnt lgkmcnt(0)
	v_mul_hi_u32 v1, s13, v6
	v_add_u32_e32 v1, v6, v1
	v_lshrrev_b32_e32 v1, s14, v1
	v_mul_hi_u32 v5, s16, v1
	v_add_u32_e32 v5, v1, v5
	v_lshrrev_b32_e32 v5, s17, v5
	v_mul_lo_u32 v3, v1, s12
	v_mul_lo_u32 v9, v5, s15
	v_mul_hi_u32 v10, s19, v5
	v_sub_u32_e32 v3, v6, v3
	v_sub_u32_e32 v1, v1, v9
	v_add_u32_e32 v9, v5, v10
	v_mul_lo_u32 v6, v3, s20
	v_mul_lo_u32 v7, v3, s22
	;; [unrolled: 1-line block ×6, first 2 shown]
	v_lshrrev_b32_e32 v9, s44, v9
	v_add3_u32 v1, v3, v2, v1
	v_add3_u32 v2, v7, v4, v11
	v_mul_hi_u32 v4, s46, v9
	v_add_u32_e32 v4, v9, v4
	v_add3_u32 v0, v6, v0, v10
	v_lshrrev_b32_e32 v6, s47, v4
	v_mul_lo_u32 v3, v9, s18
	v_mul_lo_u32 v4, v6, s45
	s_add_u32 s62, s62, 48
	v_sub_u32_e32 v3, v5, v3
	v_sub_u32_e32 v4, v9, v4
	s_addc_u32 s63, s63, 0
	v_mul_lo_u32 v5, v3, s26
	v_mul_lo_u32 v7, v3, s27
	v_mul_lo_u32 v3, v3, s48
	v_mul_lo_u32 v9, v4, s49
	v_mul_lo_u32 v10, v4, s50
	v_mul_lo_u32 v4, v4, s51
	s_cmp_lg_u32 s4, s67
	v_add3_u32 v0, v5, v0, v9
	v_add3_u32 v4, v3, v2, v4
	;; [unrolled: 1-line block ×3, first 2 shown]
	s_cbranch_scc1 .LBB4_8
; %bb.9:
	v_mov_b32_e32 v1, v4
	s_and_b32 s14, s31, 3
	s_cmp_eq_u32 s14, 0
	s_cbranch_scc0 .LBB4_11
	s_branch .LBB4_13
.LBB4_10:
	v_mov_b32_e32 v2, 0
	s_mov_b32 s4, 0
	v_mov_b32_e32 v1, v2
                                        ; implicit-def: $vgpr4
	v_mov_b32_e32 v6, v8
	v_mov_b32_e32 v0, v2
	s_and_b32 s14, s31, 3
	s_cmp_eq_u32 s14, 0
	s_cbranch_scc1 .LBB4_13
.LBB4_11:
	s_mul_i32 s4, s4, 12
	s_add_u32 s4, s11, s4
	s_addc_u32 s13, s33, 0
	s_add_u32 s12, s4, 4
	s_addc_u32 s13, s13, 0
.LBB4_12:                               ; =>This Inner Loop Header: Depth=1
	s_load_dwordx2 s[16:17], s[12:13], 0x0
	s_load_dword s4, s[12:13], 0x8
	s_load_dwordx2 s[18:19], s[12:13], 0xc0
	s_load_dword s15, s[12:13], 0xc8
	v_mov_b32_e32 v4, v1
	s_waitcnt lgkmcnt(0)
	v_mul_hi_u32 v1, s17, v6
	v_add_u32_e32 v1, v6, v1
	v_lshrrev_b32_e32 v1, s4, v1
	v_mul_lo_u32 v3, v1, s16
	s_add_u32 s12, s12, 12
	v_sub_u32_e32 v3, v6, v3
	s_addc_u32 s13, s13, 0
	s_add_i32 s14, s14, -1
	v_mov_b32_e32 v6, v1
	v_mad_u64_u32 v[0:1], s[16:17], v3, s18, v[0:1]
	v_mad_u64_u32 v[4:5], s[16:17], v3, s15, v[4:5]
	s_cmp_lg_u32 s14, 0
	v_mad_u64_u32 v[2:3], s[16:17], v3, s19, v[2:3]
	v_mov_b32_e32 v1, v4
	s_cbranch_scc1 .LBB4_12
.LBB4_13:
	s_mov_b64 s[12:13], 0
.LBB4_14:
	s_andn2_b64 vcc, exec, s[12:13]
	s_cbranch_vccnz .LBB4_17
; %bb.15:
	v_mul_hi_u32 v0, s6, v8
	v_add_u32_e32 v0, v8, v0
	v_lshrrev_b32_e32 v1, s7, v0
	v_mul_lo_u32 v0, v1, s5
	v_sub_u32_e32 v2, v8, v0
	v_mul_lo_u32 v0, v2, s40
	v_mul_lo_u32 v4, v2, s42
	s_andn2_b64 vcc, exec, s[56:57]
	v_mul_lo_u32 v2, v2, s41
	s_cbranch_vccnz .LBB4_17
; %bb.16:
	v_mul_hi_u32 v3, s9, v1
	v_add_u32_e32 v3, v1, v3
	v_lshrrev_b32_e32 v3, s10, v3
	v_mul_lo_u32 v3, v3, s8
	v_sub_u32_e32 v5, v1, v3
	v_mad_u64_u32 v[0:1], s[12:13], v5, s43, v[0:1]
	v_mad_u64_u32 v[2:3], s[12:13], v5, s54, v[2:3]
	;; [unrolled: 1-line block ×3, first 2 shown]
.LBB4_17:
	s_andn2_b64 vcc, exec, s[52:53]
	s_cbranch_vccnz .LBB4_20
; %bb.18:
	s_waitcnt lgkmcnt(0)
	global_load_ushort v9, v0, s[36:37]
	v_mov_b32_e32 v1, 0
	v_mov_b32_e32 v3, v1
	;; [unrolled: 1-line block ×3, first 2 shown]
	s_ashr_i32 s31, s30, 31
	s_ashr_i32 s15, s29, 31
	s_mov_b32 s14, s29
	v_lshl_add_u64 v[6:7], s[36:37], 0, v[0:1]
	v_lshl_add_u64 v[2:3], s[38:39], 0, v[2:3]
	;; [unrolled: 1-line block ×3, first 2 shown]
	s_lshl_b64 s[12:13], s[30:31], 1
	s_lshl_b64 s[14:15], s[14:15], 1
	s_mov_b32 s4, s28
.LBB4_19:                               ; =>This Inner Loop Header: Depth=1
	global_load_ushort v4, v[2:3], off
	global_load_ushort v5, v[0:1], off
	s_add_i32 s4, s4, -1
	v_lshl_add_u64 v[0:1], v[0:1], 0, s[12:13]
	v_lshl_add_u64 v[2:3], v[2:3], 0, s[14:15]
	s_cmp_lg_u32 s4, 0
	s_waitcnt vmcnt(0)
	v_mad_legacy_u16 v9, v5, v4, v9
	global_store_short v[6:7], v9, off
	s_cbranch_scc1 .LBB4_19
.LBB4_20:
	v_add_u32_e32 v8, 0x100, v8
	s_or_b64 exec, exec, s[60:61]
	v_cmp_gt_i32_e32 vcc, s66, v8
	s_and_saveexec_b64 s[60:61], vcc
	s_cbranch_execz .LBB4_2
.LBB4_21:
	s_and_b64 vcc, exec, s[0:1]
	s_cbranch_vccnz .LBB4_27
; %bb.22:
	v_mov_b32_e32 v4, 0
	s_andn2_b64 vcc, exec, s[2:3]
	v_mov_b32_e32 v2, 0
	v_mov_b32_e32 v0, 0
	s_cbranch_vccnz .LBB4_31
; %bb.23:
	s_add_i32 s31, s65, 1
	s_cmp_eq_u32 s64, 2
	s_cbranch_scc1 .LBB4_28
; %bb.24:
	s_and_b32 s4, s31, 28
	v_mov_b32_e32 v0, 0
	s_mov_b32 s67, 0
	s_mov_b64 s[62:63], s[58:59]
	v_mov_b32_e32 v6, v8
	v_mov_b32_e32 v2, 0
	v_mov_b32_e32 v4, 0
.LBB4_25:                               ; =>This Inner Loop Header: Depth=1
	s_load_dwordx8 s[12:19], s[62:63], 0x0
	s_load_dwordx4 s[44:47], s[62:63], 0x20
	s_load_dwordx4 s[48:51], s[62:63], 0xe0
	s_load_dwordx8 s[20:27], s[62:63], 0xc0
	s_add_i32 s67, s67, 4
	s_waitcnt lgkmcnt(0)
	v_mul_hi_u32 v1, s13, v6
	v_add_u32_e32 v1, v6, v1
	v_lshrrev_b32_e32 v1, s14, v1
	v_mul_hi_u32 v5, s16, v1
	v_add_u32_e32 v5, v1, v5
	v_lshrrev_b32_e32 v5, s17, v5
	v_mul_lo_u32 v3, v1, s12
	v_mul_lo_u32 v9, v5, s15
	v_mul_hi_u32 v10, s19, v5
	v_sub_u32_e32 v3, v6, v3
	v_sub_u32_e32 v1, v1, v9
	v_add_u32_e32 v9, v5, v10
	v_mul_lo_u32 v6, v3, s20
	v_mul_lo_u32 v7, v3, s22
	;; [unrolled: 1-line block ×6, first 2 shown]
	v_lshrrev_b32_e32 v9, s44, v9
	v_add3_u32 v1, v3, v2, v1
	v_add3_u32 v2, v7, v4, v11
	v_mul_hi_u32 v4, s46, v9
	v_add_u32_e32 v4, v9, v4
	v_add3_u32 v0, v6, v0, v10
	v_lshrrev_b32_e32 v6, s47, v4
	v_mul_lo_u32 v3, v9, s18
	v_mul_lo_u32 v4, v6, s45
	s_add_u32 s62, s62, 48
	v_sub_u32_e32 v3, v5, v3
	v_sub_u32_e32 v4, v9, v4
	s_addc_u32 s63, s63, 0
	v_mul_lo_u32 v5, v3, s26
	v_mul_lo_u32 v7, v3, s27
	;; [unrolled: 1-line block ×6, first 2 shown]
	s_cmp_eq_u32 s4, s67
	v_add3_u32 v0, v5, v0, v9
	v_add3_u32 v4, v3, v2, v4
	;; [unrolled: 1-line block ×3, first 2 shown]
	s_cbranch_scc0 .LBB4_25
; %bb.26:
	v_mov_b32_e32 v1, v4
	s_and_b32 s14, s31, 3
	s_cmp_eq_u32 s14, 0
	s_cbranch_scc0 .LBB4_29
	s_branch .LBB4_31
.LBB4_27:
                                        ; implicit-def: $vgpr4
                                        ; implicit-def: $vgpr2
                                        ; implicit-def: $vgpr0
	s_branch .LBB4_32
.LBB4_28:
	v_mov_b32_e32 v2, 0
	s_mov_b32 s4, 0
	v_mov_b32_e32 v1, v2
                                        ; implicit-def: $vgpr4
	v_mov_b32_e32 v6, v8
	v_mov_b32_e32 v0, v2
	s_and_b32 s14, s31, 3
	s_cmp_eq_u32 s14, 0
	s_cbranch_scc1 .LBB4_31
.LBB4_29:
	s_mul_i32 s4, s4, 12
	s_add_u32 s4, s11, s4
	s_addc_u32 s13, s33, 0
	s_add_u32 s12, s4, 4
	s_addc_u32 s13, s13, 0
.LBB4_30:                               ; =>This Inner Loop Header: Depth=1
	s_load_dwordx2 s[16:17], s[12:13], 0x0
	s_load_dword s4, s[12:13], 0x8
	s_load_dwordx2 s[18:19], s[12:13], 0xc0
	s_load_dword s15, s[12:13], 0xc8
	v_mov_b32_e32 v4, v1
	s_waitcnt lgkmcnt(0)
	v_mul_hi_u32 v1, s17, v6
	v_add_u32_e32 v1, v6, v1
	v_lshrrev_b32_e32 v1, s4, v1
	v_mul_lo_u32 v3, v1, s16
	s_add_u32 s12, s12, 12
	v_sub_u32_e32 v3, v6, v3
	s_addc_u32 s13, s13, 0
	s_add_i32 s14, s14, -1
	v_mov_b32_e32 v6, v1
	v_mad_u64_u32 v[0:1], s[16:17], v3, s18, v[0:1]
	v_mad_u64_u32 v[4:5], s[16:17], v3, s15, v[4:5]
	s_cmp_lg_u32 s14, 0
	v_mad_u64_u32 v[2:3], s[16:17], v3, s19, v[2:3]
	v_mov_b32_e32 v1, v4
	s_cbranch_scc1 .LBB4_30
.LBB4_31:
	s_cbranch_execnz .LBB4_34
.LBB4_32:
	v_mul_hi_u32 v0, s6, v8
	v_add_u32_e32 v0, v8, v0
	v_lshrrev_b32_e32 v1, s7, v0
	v_mul_lo_u32 v0, v1, s5
	v_sub_u32_e32 v2, v8, v0
	v_mul_lo_u32 v0, v2, s40
	v_mul_lo_u32 v4, v2, s42
	s_andn2_b64 vcc, exec, s[56:57]
	v_mul_lo_u32 v2, v2, s41
	s_cbranch_vccnz .LBB4_34
; %bb.33:
	v_mul_hi_u32 v3, s9, v1
	v_add_u32_e32 v3, v1, v3
	v_lshrrev_b32_e32 v3, s10, v3
	v_mul_lo_u32 v3, v3, s8
	v_sub_u32_e32 v5, v1, v3
	v_mad_u64_u32 v[0:1], s[12:13], v5, s43, v[0:1]
	v_mad_u64_u32 v[2:3], s[12:13], v5, s54, v[2:3]
	;; [unrolled: 1-line block ×3, first 2 shown]
.LBB4_34:
	s_andn2_b64 vcc, exec, s[52:53]
	s_cbranch_vccnz .LBB4_37
; %bb.35:
	s_waitcnt lgkmcnt(0)
	global_load_ushort v9, v0, s[36:37]
	v_mov_b32_e32 v1, 0
	v_mov_b32_e32 v3, v1
	;; [unrolled: 1-line block ×3, first 2 shown]
	s_ashr_i32 s31, s30, 31
	s_ashr_i32 s15, s29, 31
	s_mov_b32 s14, s29
	v_lshl_add_u64 v[6:7], s[36:37], 0, v[0:1]
	v_lshl_add_u64 v[2:3], s[38:39], 0, v[2:3]
	;; [unrolled: 1-line block ×3, first 2 shown]
	s_lshl_b64 s[12:13], s[30:31], 1
	s_lshl_b64 s[14:15], s[14:15], 1
	s_mov_b32 s4, s28
.LBB4_36:                               ; =>This Inner Loop Header: Depth=1
	global_load_ushort v4, v[2:3], off
	global_load_ushort v5, v[0:1], off
	s_add_i32 s4, s4, -1
	v_lshl_add_u64 v[0:1], v[0:1], 0, s[12:13]
	v_lshl_add_u64 v[2:3], v[2:3], 0, s[14:15]
	s_cmp_lg_u32 s4, 0
	s_waitcnt vmcnt(0)
	v_mad_legacy_u16 v9, v5, v4, v9
	global_store_short v[6:7], v9, off
	s_cbranch_scc1 .LBB4_36
.LBB4_37:
	v_add_u32_e32 v8, 0x100, v8
	s_or_b64 exec, exec, s[60:61]
	v_cmp_gt_i32_e32 vcc, s66, v8
	s_and_saveexec_b64 s[60:61], vcc
	s_cbranch_execz .LBB4_3
.LBB4_38:
	s_and_b64 vcc, exec, s[0:1]
	s_cbranch_vccnz .LBB4_44
; %bb.39:
	v_mov_b32_e32 v4, 0
	s_andn2_b64 vcc, exec, s[2:3]
	v_mov_b32_e32 v2, 0
	v_mov_b32_e32 v0, 0
	s_cbranch_vccnz .LBB4_48
; %bb.40:
	s_add_i32 s31, s65, 1
	s_cmp_eq_u32 s64, 2
	s_cbranch_scc1 .LBB4_45
; %bb.41:
	s_and_b32 s4, s31, 28
	v_mov_b32_e32 v0, 0
	s_mov_b32 s67, 0
	s_mov_b64 s[62:63], s[58:59]
	v_mov_b32_e32 v6, v8
	v_mov_b32_e32 v2, 0
	;; [unrolled: 1-line block ×3, first 2 shown]
.LBB4_42:                               ; =>This Inner Loop Header: Depth=1
	s_load_dwordx8 s[12:19], s[62:63], 0x0
	s_load_dwordx4 s[44:47], s[62:63], 0x20
	s_load_dwordx4 s[48:51], s[62:63], 0xe0
	s_load_dwordx8 s[20:27], s[62:63], 0xc0
	s_add_i32 s67, s67, 4
	s_waitcnt lgkmcnt(0)
	v_mul_hi_u32 v1, s13, v6
	v_add_u32_e32 v1, v6, v1
	v_lshrrev_b32_e32 v1, s14, v1
	v_mul_hi_u32 v5, s16, v1
	v_add_u32_e32 v5, v1, v5
	v_lshrrev_b32_e32 v5, s17, v5
	v_mul_lo_u32 v3, v1, s12
	v_mul_lo_u32 v9, v5, s15
	v_mul_hi_u32 v10, s19, v5
	v_sub_u32_e32 v3, v6, v3
	v_sub_u32_e32 v1, v1, v9
	v_add_u32_e32 v9, v5, v10
	v_mul_lo_u32 v6, v3, s20
	v_mul_lo_u32 v7, v3, s22
	v_mul_lo_u32 v3, v3, s21
	v_mul_lo_u32 v10, v1, s23
	v_mul_lo_u32 v11, v1, s25
	v_mul_lo_u32 v1, v1, s24
	v_lshrrev_b32_e32 v9, s44, v9
	v_add3_u32 v1, v3, v2, v1
	v_add3_u32 v2, v7, v4, v11
	v_mul_hi_u32 v4, s46, v9
	v_add_u32_e32 v4, v9, v4
	v_add3_u32 v0, v6, v0, v10
	v_lshrrev_b32_e32 v6, s47, v4
	v_mul_lo_u32 v3, v9, s18
	v_mul_lo_u32 v4, v6, s45
	s_add_u32 s62, s62, 48
	v_sub_u32_e32 v3, v5, v3
	v_sub_u32_e32 v4, v9, v4
	s_addc_u32 s63, s63, 0
	v_mul_lo_u32 v5, v3, s26
	v_mul_lo_u32 v7, v3, s27
	;; [unrolled: 1-line block ×6, first 2 shown]
	s_cmp_eq_u32 s4, s67
	v_add3_u32 v0, v5, v0, v9
	v_add3_u32 v4, v3, v2, v4
	;; [unrolled: 1-line block ×3, first 2 shown]
	s_cbranch_scc0 .LBB4_42
; %bb.43:
	v_mov_b32_e32 v1, v4
	s_and_b32 s14, s31, 3
	s_cmp_eq_u32 s14, 0
	s_cbranch_scc0 .LBB4_46
	s_branch .LBB4_48
.LBB4_44:
                                        ; implicit-def: $vgpr4
                                        ; implicit-def: $vgpr2
                                        ; implicit-def: $vgpr0
	s_branch .LBB4_49
.LBB4_45:
	v_mov_b32_e32 v2, 0
	s_mov_b32 s4, 0
	v_mov_b32_e32 v1, v2
                                        ; implicit-def: $vgpr4
	v_mov_b32_e32 v6, v8
	v_mov_b32_e32 v0, v2
	s_and_b32 s14, s31, 3
	s_cmp_eq_u32 s14, 0
	s_cbranch_scc1 .LBB4_48
.LBB4_46:
	s_mul_i32 s4, s4, 12
	s_add_u32 s4, s11, s4
	s_addc_u32 s13, s33, 0
	s_add_u32 s12, s4, 4
	s_addc_u32 s13, s13, 0
.LBB4_47:                               ; =>This Inner Loop Header: Depth=1
	s_load_dwordx2 s[16:17], s[12:13], 0x0
	s_load_dword s4, s[12:13], 0x8
	s_load_dwordx2 s[18:19], s[12:13], 0xc0
	s_load_dword s15, s[12:13], 0xc8
	v_mov_b32_e32 v4, v1
	s_waitcnt lgkmcnt(0)
	v_mul_hi_u32 v1, s17, v6
	v_add_u32_e32 v1, v6, v1
	v_lshrrev_b32_e32 v1, s4, v1
	v_mul_lo_u32 v3, v1, s16
	s_add_u32 s12, s12, 12
	v_sub_u32_e32 v3, v6, v3
	s_addc_u32 s13, s13, 0
	s_add_i32 s14, s14, -1
	v_mov_b32_e32 v6, v1
	v_mad_u64_u32 v[0:1], s[16:17], v3, s18, v[0:1]
	v_mad_u64_u32 v[4:5], s[16:17], v3, s15, v[4:5]
	s_cmp_lg_u32 s14, 0
	v_mad_u64_u32 v[2:3], s[16:17], v3, s19, v[2:3]
	v_mov_b32_e32 v1, v4
	s_cbranch_scc1 .LBB4_47
.LBB4_48:
	s_cbranch_execnz .LBB4_51
.LBB4_49:
	v_mul_hi_u32 v0, s6, v8
	v_add_u32_e32 v0, v8, v0
	v_lshrrev_b32_e32 v1, s7, v0
	v_mul_lo_u32 v0, v1, s5
	v_sub_u32_e32 v2, v8, v0
	v_mul_lo_u32 v0, v2, s40
	v_mul_lo_u32 v4, v2, s42
	s_andn2_b64 vcc, exec, s[56:57]
	v_mul_lo_u32 v2, v2, s41
	s_cbranch_vccnz .LBB4_51
; %bb.50:
	v_mul_hi_u32 v3, s9, v1
	v_add_u32_e32 v3, v1, v3
	v_lshrrev_b32_e32 v3, s10, v3
	v_mul_lo_u32 v3, v3, s8
	v_sub_u32_e32 v5, v1, v3
	v_mad_u64_u32 v[0:1], s[12:13], v5, s43, v[0:1]
	v_mad_u64_u32 v[2:3], s[12:13], v5, s54, v[2:3]
	v_mad_u64_u32 v[4:5], s[12:13], v5, s55, v[4:5]
.LBB4_51:
	s_andn2_b64 vcc, exec, s[52:53]
	s_cbranch_vccnz .LBB4_54
; %bb.52:
	s_waitcnt lgkmcnt(0)
	global_load_ushort v9, v0, s[36:37]
	v_mov_b32_e32 v1, 0
	v_mov_b32_e32 v3, v1
	;; [unrolled: 1-line block ×3, first 2 shown]
	s_ashr_i32 s31, s30, 31
	s_ashr_i32 s15, s29, 31
	s_mov_b32 s14, s29
	v_lshl_add_u64 v[6:7], s[36:37], 0, v[0:1]
	v_lshl_add_u64 v[2:3], s[38:39], 0, v[2:3]
	;; [unrolled: 1-line block ×3, first 2 shown]
	s_lshl_b64 s[12:13], s[30:31], 1
	s_lshl_b64 s[14:15], s[14:15], 1
	s_mov_b32 s4, s28
.LBB4_53:                               ; =>This Inner Loop Header: Depth=1
	global_load_ushort v4, v[2:3], off
	global_load_ushort v5, v[0:1], off
	s_add_i32 s4, s4, -1
	v_lshl_add_u64 v[0:1], v[0:1], 0, s[12:13]
	v_lshl_add_u64 v[2:3], v[2:3], 0, s[14:15]
	s_cmp_lg_u32 s4, 0
	s_waitcnt vmcnt(0)
	v_mad_legacy_u16 v9, v5, v4, v9
	global_store_short v[6:7], v9, off
	s_cbranch_scc1 .LBB4_53
.LBB4_54:
	v_add_u32_e32 v8, 0x100, v8
	s_or_b64 exec, exec, s[60:61]
	v_cmp_gt_i32_e32 vcc, s66, v8
	s_and_saveexec_b64 s[12:13], vcc
	s_cbranch_execz .LBB4_71
.LBB4_55:
	s_and_b64 vcc, exec, s[0:1]
	s_cbranch_vccnz .LBB4_61
; %bb.56:
	v_mov_b32_e32 v4, 0
	s_andn2_b64 vcc, exec, s[2:3]
	v_mov_b32_e32 v2, 0
	v_mov_b32_e32 v0, 0
	s_cbranch_vccnz .LBB4_65
; %bb.57:
	s_add_i32 s65, s65, 1
	s_cmp_eq_u32 s64, 2
	s_cbranch_scc1 .LBB4_62
; %bb.58:
	s_and_b32 s4, s65, 28
	v_mov_b32_e32 v0, 0
	s_mov_b32 s31, 0
	v_mov_b32_e32 v6, v8
	v_mov_b32_e32 v2, 0
	;; [unrolled: 1-line block ×3, first 2 shown]
.LBB4_59:                               ; =>This Inner Loop Header: Depth=1
	s_load_dwordx8 s[12:19], s[58:59], 0x0
	s_load_dwordx4 s[0:3], s[58:59], 0x20
	s_load_dwordx4 s[44:47], s[58:59], 0xe0
	s_load_dwordx8 s[20:27], s[58:59], 0xc0
	s_add_i32 s31, s31, 4
	s_waitcnt lgkmcnt(0)
	v_mul_hi_u32 v1, s13, v6
	v_add_u32_e32 v1, v6, v1
	v_lshrrev_b32_e32 v1, s14, v1
	v_mul_hi_u32 v5, s16, v1
	v_add_u32_e32 v5, v1, v5
	v_lshrrev_b32_e32 v5, s17, v5
	v_mul_lo_u32 v3, v1, s12
	v_mul_lo_u32 v9, v5, s15
	v_mul_hi_u32 v10, s19, v5
	v_sub_u32_e32 v3, v6, v3
	v_sub_u32_e32 v1, v1, v9
	v_add_u32_e32 v9, v5, v10
	v_mul_lo_u32 v6, v3, s20
	v_mul_lo_u32 v7, v3, s22
	;; [unrolled: 1-line block ×6, first 2 shown]
	v_lshrrev_b32_e32 v9, s0, v9
	v_add3_u32 v1, v3, v2, v1
	v_add3_u32 v2, v7, v4, v11
	v_mul_hi_u32 v4, s2, v9
	v_add_u32_e32 v4, v9, v4
	v_add3_u32 v0, v6, v0, v10
	v_lshrrev_b32_e32 v6, s3, v4
	v_mul_lo_u32 v3, v9, s18
	v_mul_lo_u32 v4, v6, s1
	s_add_u32 s58, s58, 48
	v_sub_u32_e32 v3, v5, v3
	v_sub_u32_e32 v4, v9, v4
	s_addc_u32 s59, s59, 0
	v_mul_lo_u32 v5, v3, s26
	v_mul_lo_u32 v7, v3, s27
	;; [unrolled: 1-line block ×6, first 2 shown]
	s_cmp_eq_u32 s4, s31
	v_add3_u32 v0, v5, v0, v9
	v_add3_u32 v4, v3, v2, v4
	;; [unrolled: 1-line block ×3, first 2 shown]
	s_cbranch_scc0 .LBB4_59
; %bb.60:
	v_mov_b32_e32 v1, v4
	s_and_b32 s2, s65, 3
	s_cmp_eq_u32 s2, 0
	s_cbranch_scc0 .LBB4_63
	s_branch .LBB4_65
.LBB4_61:
                                        ; implicit-def: $vgpr4
                                        ; implicit-def: $vgpr2
                                        ; implicit-def: $vgpr0
	s_branch .LBB4_66
.LBB4_62:
	v_mov_b32_e32 v2, 0
	s_mov_b32 s4, 0
	v_mov_b32_e32 v1, v2
                                        ; implicit-def: $vgpr4
	v_mov_b32_e32 v6, v8
	v_mov_b32_e32 v0, v2
	s_and_b32 s2, s65, 3
	s_cmp_eq_u32 s2, 0
	s_cbranch_scc1 .LBB4_65
.LBB4_63:
	s_mul_i32 s0, s4, 12
	s_add_u32 s0, s11, s0
	s_addc_u32 s1, s33, 0
	s_add_u32 s0, s0, 4
	s_addc_u32 s1, s1, 0
.LBB4_64:                               ; =>This Inner Loop Header: Depth=1
	s_load_dwordx2 s[12:13], s[0:1], 0x0
	s_load_dword s3, s[0:1], 0x8
	s_load_dwordx2 s[14:15], s[0:1], 0xc0
	s_load_dword s4, s[0:1], 0xc8
	v_mov_b32_e32 v4, v1
	s_waitcnt lgkmcnt(0)
	v_mul_hi_u32 v1, s13, v6
	v_add_u32_e32 v1, v6, v1
	v_lshrrev_b32_e32 v1, s3, v1
	v_mul_lo_u32 v3, v1, s12
	s_add_u32 s0, s0, 12
	v_sub_u32_e32 v3, v6, v3
	s_addc_u32 s1, s1, 0
	s_add_i32 s2, s2, -1
	v_mov_b32_e32 v6, v1
	v_mad_u64_u32 v[0:1], s[12:13], v3, s14, v[0:1]
	v_mad_u64_u32 v[4:5], s[12:13], v3, s4, v[4:5]
	s_cmp_lg_u32 s2, 0
	v_mad_u64_u32 v[2:3], s[12:13], v3, s15, v[2:3]
	v_mov_b32_e32 v1, v4
	s_cbranch_scc1 .LBB4_64
.LBB4_65:
	s_cbranch_execnz .LBB4_68
.LBB4_66:
	v_mul_hi_u32 v0, s6, v8
	v_add_u32_e32 v0, v8, v0
	v_lshrrev_b32_e32 v1, s7, v0
	v_mul_lo_u32 v0, v1, s5
	v_sub_u32_e32 v2, v8, v0
	v_mul_lo_u32 v0, v2, s40
	v_mul_lo_u32 v4, v2, s42
	s_andn2_b64 vcc, exec, s[56:57]
	v_mul_lo_u32 v2, v2, s41
	s_cbranch_vccnz .LBB4_68
; %bb.67:
	v_mul_hi_u32 v3, s9, v1
	v_add_u32_e32 v3, v1, v3
	v_lshrrev_b32_e32 v3, s10, v3
	v_mul_lo_u32 v3, v3, s8
	v_sub_u32_e32 v5, v1, v3
	v_mad_u64_u32 v[0:1], s[0:1], v5, s43, v[0:1]
	v_mad_u64_u32 v[2:3], s[0:1], v5, s54, v[2:3]
	;; [unrolled: 1-line block ×3, first 2 shown]
.LBB4_68:
	s_andn2_b64 vcc, exec, s[52:53]
	s_cbranch_vccnz .LBB4_71
; %bb.69:
	s_waitcnt lgkmcnt(0)
	global_load_ushort v8, v0, s[36:37]
	v_mov_b32_e32 v1, 0
	v_mov_b32_e32 v3, v1
	;; [unrolled: 1-line block ×3, first 2 shown]
	s_ashr_i32 s31, s30, 31
	s_ashr_i32 s3, s29, 31
	s_mov_b32 s2, s29
	v_lshl_add_u64 v[6:7], s[36:37], 0, v[0:1]
	v_lshl_add_u64 v[2:3], s[38:39], 0, v[2:3]
	;; [unrolled: 1-line block ×3, first 2 shown]
	s_lshl_b64 s[0:1], s[30:31], 1
	s_lshl_b64 s[2:3], s[2:3], 1
.LBB4_70:                               ; =>This Inner Loop Header: Depth=1
	global_load_ushort v4, v[2:3], off
	global_load_ushort v5, v[0:1], off
	s_add_i32 s28, s28, -1
	v_lshl_add_u64 v[0:1], v[0:1], 0, s[0:1]
	v_lshl_add_u64 v[2:3], v[2:3], 0, s[2:3]
	s_cmp_lg_u32 s28, 0
	s_waitcnt vmcnt(0)
	v_mad_legacy_u16 v8, v5, v4, v8
	global_store_short v[6:7], v8, off
	s_cbranch_scc1 .LBB4_70
.LBB4_71:
	s_endpgm
	.section	.rodata,"a",@progbits
	.p2align	6, 0x0
	.amdhsa_kernel _ZN2at6native12_GLOBAL__N_116_elemwise_kernelILi256ELi4EZNS1_43_compute_linear_combination_internal_kernelIsEEvRNS_14TensorIteratorEiiiEUliE_EEviT1_
		.amdhsa_group_segment_fixed_size 0
		.amdhsa_private_segment_fixed_size 0
		.amdhsa_kernarg_size 440
		.amdhsa_user_sgpr_count 2
		.amdhsa_user_sgpr_dispatch_ptr 0
		.amdhsa_user_sgpr_queue_ptr 0
		.amdhsa_user_sgpr_kernarg_segment_ptr 1
		.amdhsa_user_sgpr_dispatch_id 0
		.amdhsa_user_sgpr_kernarg_preload_length 0
		.amdhsa_user_sgpr_kernarg_preload_offset 0
		.amdhsa_user_sgpr_private_segment_size 0
		.amdhsa_uses_dynamic_stack 0
		.amdhsa_enable_private_segment 0
		.amdhsa_system_sgpr_workgroup_id_x 1
		.amdhsa_system_sgpr_workgroup_id_y 0
		.amdhsa_system_sgpr_workgroup_id_z 0
		.amdhsa_system_sgpr_workgroup_info 0
		.amdhsa_system_vgpr_workitem_id 0
		.amdhsa_next_free_vgpr 12
		.amdhsa_next_free_sgpr 68
		.amdhsa_accum_offset 12
		.amdhsa_reserve_vcc 1
		.amdhsa_float_round_mode_32 0
		.amdhsa_float_round_mode_16_64 0
		.amdhsa_float_denorm_mode_32 3
		.amdhsa_float_denorm_mode_16_64 3
		.amdhsa_dx10_clamp 1
		.amdhsa_ieee_mode 1
		.amdhsa_fp16_overflow 0
		.amdhsa_tg_split 0
		.amdhsa_exception_fp_ieee_invalid_op 0
		.amdhsa_exception_fp_denorm_src 0
		.amdhsa_exception_fp_ieee_div_zero 0
		.amdhsa_exception_fp_ieee_overflow 0
		.amdhsa_exception_fp_ieee_underflow 0
		.amdhsa_exception_fp_ieee_inexact 0
		.amdhsa_exception_int_div_zero 0
	.end_amdhsa_kernel
	.section	.text._ZN2at6native12_GLOBAL__N_116_elemwise_kernelILi256ELi4EZNS1_43_compute_linear_combination_internal_kernelIsEEvRNS_14TensorIteratorEiiiEUliE_EEviT1_,"axG",@progbits,_ZN2at6native12_GLOBAL__N_116_elemwise_kernelILi256ELi4EZNS1_43_compute_linear_combination_internal_kernelIsEEvRNS_14TensorIteratorEiiiEUliE_EEviT1_,comdat
.Lfunc_end4:
	.size	_ZN2at6native12_GLOBAL__N_116_elemwise_kernelILi256ELi4EZNS1_43_compute_linear_combination_internal_kernelIsEEvRNS_14TensorIteratorEiiiEUliE_EEviT1_, .Lfunc_end4-_ZN2at6native12_GLOBAL__N_116_elemwise_kernelILi256ELi4EZNS1_43_compute_linear_combination_internal_kernelIsEEvRNS_14TensorIteratorEiiiEUliE_EEviT1_
                                        ; -- End function
	.set _ZN2at6native12_GLOBAL__N_116_elemwise_kernelILi256ELi4EZNS1_43_compute_linear_combination_internal_kernelIsEEvRNS_14TensorIteratorEiiiEUliE_EEviT1_.num_vgpr, 12
	.set _ZN2at6native12_GLOBAL__N_116_elemwise_kernelILi256ELi4EZNS1_43_compute_linear_combination_internal_kernelIsEEvRNS_14TensorIteratorEiiiEUliE_EEviT1_.num_agpr, 0
	.set _ZN2at6native12_GLOBAL__N_116_elemwise_kernelILi256ELi4EZNS1_43_compute_linear_combination_internal_kernelIsEEvRNS_14TensorIteratorEiiiEUliE_EEviT1_.numbered_sgpr, 68
	.set _ZN2at6native12_GLOBAL__N_116_elemwise_kernelILi256ELi4EZNS1_43_compute_linear_combination_internal_kernelIsEEvRNS_14TensorIteratorEiiiEUliE_EEviT1_.num_named_barrier, 0
	.set _ZN2at6native12_GLOBAL__N_116_elemwise_kernelILi256ELi4EZNS1_43_compute_linear_combination_internal_kernelIsEEvRNS_14TensorIteratorEiiiEUliE_EEviT1_.private_seg_size, 0
	.set _ZN2at6native12_GLOBAL__N_116_elemwise_kernelILi256ELi4EZNS1_43_compute_linear_combination_internal_kernelIsEEvRNS_14TensorIteratorEiiiEUliE_EEviT1_.uses_vcc, 1
	.set _ZN2at6native12_GLOBAL__N_116_elemwise_kernelILi256ELi4EZNS1_43_compute_linear_combination_internal_kernelIsEEvRNS_14TensorIteratorEiiiEUliE_EEviT1_.uses_flat_scratch, 0
	.set _ZN2at6native12_GLOBAL__N_116_elemwise_kernelILi256ELi4EZNS1_43_compute_linear_combination_internal_kernelIsEEvRNS_14TensorIteratorEiiiEUliE_EEviT1_.has_dyn_sized_stack, 0
	.set _ZN2at6native12_GLOBAL__N_116_elemwise_kernelILi256ELi4EZNS1_43_compute_linear_combination_internal_kernelIsEEvRNS_14TensorIteratorEiiiEUliE_EEviT1_.has_recursion, 0
	.set _ZN2at6native12_GLOBAL__N_116_elemwise_kernelILi256ELi4EZNS1_43_compute_linear_combination_internal_kernelIsEEvRNS_14TensorIteratorEiiiEUliE_EEviT1_.has_indirect_call, 0
	.section	.AMDGPU.csdata,"",@progbits
; Kernel info:
; codeLenInByte = 3632
; TotalNumSgprs: 74
; NumVgprs: 12
; NumAgprs: 0
; TotalNumVgprs: 12
; ScratchSize: 0
; MemoryBound: 0
; FloatMode: 240
; IeeeMode: 1
; LDSByteSize: 0 bytes/workgroup (compile time only)
; SGPRBlocks: 9
; VGPRBlocks: 1
; NumSGPRsForWavesPerEU: 74
; NumVGPRsForWavesPerEU: 12
; AccumOffset: 12
; Occupancy: 8
; WaveLimiterHint : 1
; COMPUTE_PGM_RSRC2:SCRATCH_EN: 0
; COMPUTE_PGM_RSRC2:USER_SGPR: 2
; COMPUTE_PGM_RSRC2:TRAP_HANDLER: 0
; COMPUTE_PGM_RSRC2:TGID_X_EN: 1
; COMPUTE_PGM_RSRC2:TGID_Y_EN: 0
; COMPUTE_PGM_RSRC2:TGID_Z_EN: 0
; COMPUTE_PGM_RSRC2:TIDIG_COMP_CNT: 0
; COMPUTE_PGM_RSRC3_GFX90A:ACCUM_OFFSET: 2
; COMPUTE_PGM_RSRC3_GFX90A:TG_SPLIT: 0
	.section	.text._ZN2at6native12_GLOBAL__N_116_elemwise_kernelILi256ELi4EZNS1_43_compute_linear_combination_internal_kernelIdEEvRNS_14TensorIteratorEiiiEUliE_EEviT1_,"axG",@progbits,_ZN2at6native12_GLOBAL__N_116_elemwise_kernelILi256ELi4EZNS1_43_compute_linear_combination_internal_kernelIdEEvRNS_14TensorIteratorEiiiEUliE_EEviT1_,comdat
	.globl	_ZN2at6native12_GLOBAL__N_116_elemwise_kernelILi256ELi4EZNS1_43_compute_linear_combination_internal_kernelIdEEvRNS_14TensorIteratorEiiiEUliE_EEviT1_ ; -- Begin function _ZN2at6native12_GLOBAL__N_116_elemwise_kernelILi256ELi4EZNS1_43_compute_linear_combination_internal_kernelIdEEvRNS_14TensorIteratorEiiiEUliE_EEviT1_
	.p2align	8
	.type	_ZN2at6native12_GLOBAL__N_116_elemwise_kernelILi256ELi4EZNS1_43_compute_linear_combination_internal_kernelIdEEvRNS_14TensorIteratorEiiiEUliE_EEviT1_,@function
_ZN2at6native12_GLOBAL__N_116_elemwise_kernelILi256ELi4EZNS1_43_compute_linear_combination_internal_kernelIdEEvRNS_14TensorIteratorEiiiEUliE_EEviT1_: ; @_ZN2at6native12_GLOBAL__N_116_elemwise_kernelILi256ELi4EZNS1_43_compute_linear_combination_internal_kernelIdEEvRNS_14TensorIteratorEiiiEUliE_EEviT1_
; %bb.0:
	s_load_dword s66, s[0:1], 0x0
	s_load_dwordx8 s[4:11], s[0:1], 0x8
	s_load_dwordx4 s[40:43], s[0:1], 0xcc
	s_load_dwordx2 s[54:55], s[0:1], 0xdc
	s_load_dwordx4 s[28:31], s[0:1], 0x1a8
	v_lshl_or_b32 v10, s2, 10, v0
	s_waitcnt lgkmcnt(0)
	s_add_u32 s11, s0, 8
	s_load_dwordx2 s[34:35], s[0:1], 0x1a0
	s_load_dwordx4 s[36:39], s[0:1], 0x190
	v_sub_co_u32_e64 v0, s[2:3], s4, 1
	s_nop 0
	v_readfirstlane_b32 s64, v0
	s_addc_u32 s33, s1, 0
	s_xor_b64 s[2:3], s[2:3], -1
	s_or_b32 s58, s0, 12
	s_min_u32 s65, s64, 15
	s_mov_b32 s59, s1
	s_cmp_gt_u32 s4, 1
	v_cmp_lt_u32_e64 s[0:1], 1, v0
	s_cselect_b64 s[56:57], -1, 0
	s_cmp_gt_i32 s28, 0
	v_cndmask_b32_e64 v0, 0, 1, s[0:1]
	s_mov_b64 s[12:13], -1
	s_cselect_b64 s[52:53], -1, 0
	v_cmp_gt_i32_e32 vcc, s66, v10
	v_cmp_ne_u32_e64 s[0:1], 1, v0
	s_and_saveexec_b64 s[60:61], vcc
	s_cbranch_execnz .LBB5_4
; %bb.1:
	s_or_b64 exec, exec, s[60:61]
	v_cmp_gt_i32_e32 vcc, s66, v10
	s_and_saveexec_b64 s[60:61], vcc
	s_cbranch_execnz .LBB5_21
.LBB5_2:
	s_or_b64 exec, exec, s[60:61]
	v_cmp_gt_i32_e32 vcc, s66, v10
	s_and_saveexec_b64 s[60:61], vcc
	s_cbranch_execnz .LBB5_38
.LBB5_3:
	s_or_b64 exec, exec, s[60:61]
	v_cmp_gt_i32_e32 vcc, s66, v10
	s_and_saveexec_b64 s[12:13], vcc
	s_cbranch_execnz .LBB5_55
	s_branch .LBB5_71
.LBB5_4:
	s_and_b64 vcc, exec, s[0:1]
                                        ; implicit-def: $vgpr4
                                        ; implicit-def: $vgpr2
                                        ; implicit-def: $vgpr0
	s_cbranch_vccnz .LBB5_14
; %bb.5:
	v_mov_b32_e32 v4, 0
	s_andn2_b64 vcc, exec, s[2:3]
	v_mov_b32_e32 v2, 0
	v_mov_b32_e32 v0, 0
	s_cbranch_vccnz .LBB5_13
; %bb.6:
	s_add_i32 s31, s65, 1
	s_cmp_eq_u32 s64, 2
	s_cbranch_scc1 .LBB5_10
; %bb.7:
	s_and_b32 s4, s31, 28
	v_mov_b32_e32 v0, 0
	s_mov_b32 s67, 0
	s_mov_b64 s[62:63], s[58:59]
	v_mov_b32_e32 v6, v10
	v_mov_b32_e32 v2, 0
	;; [unrolled: 1-line block ×3, first 2 shown]
.LBB5_8:                                ; =>This Inner Loop Header: Depth=1
	s_load_dwordx8 s[12:19], s[62:63], 0x0
	s_load_dwordx4 s[44:47], s[62:63], 0x20
	s_load_dwordx4 s[48:51], s[62:63], 0xe0
	s_load_dwordx8 s[20:27], s[62:63], 0xc0
	s_add_i32 s67, s67, 4
	s_waitcnt lgkmcnt(0)
	v_mul_hi_u32 v1, s13, v6
	v_add_u32_e32 v1, v6, v1
	v_lshrrev_b32_e32 v1, s14, v1
	v_mul_hi_u32 v5, s16, v1
	v_add_u32_e32 v5, v1, v5
	v_lshrrev_b32_e32 v5, s17, v5
	v_mul_lo_u32 v3, v1, s12
	v_mul_lo_u32 v8, v5, s15
	v_mul_hi_u32 v9, s19, v5
	v_sub_u32_e32 v3, v6, v3
	v_sub_u32_e32 v1, v1, v8
	v_add_u32_e32 v8, v5, v9
	v_mul_lo_u32 v6, v3, s20
	v_mul_lo_u32 v7, v3, s22
	;; [unrolled: 1-line block ×6, first 2 shown]
	v_lshrrev_b32_e32 v8, s44, v8
	v_add3_u32 v1, v3, v2, v1
	v_add3_u32 v2, v7, v4, v11
	v_mul_hi_u32 v4, s46, v8
	v_add_u32_e32 v4, v8, v4
	v_add3_u32 v0, v6, v0, v9
	v_lshrrev_b32_e32 v6, s47, v4
	v_mul_lo_u32 v3, v8, s18
	v_mul_lo_u32 v4, v6, s45
	s_add_u32 s62, s62, 48
	v_sub_u32_e32 v3, v5, v3
	v_sub_u32_e32 v4, v8, v4
	s_addc_u32 s63, s63, 0
	v_mul_lo_u32 v5, v3, s26
	v_mul_lo_u32 v7, v3, s27
	;; [unrolled: 1-line block ×6, first 2 shown]
	s_cmp_lg_u32 s4, s67
	v_add3_u32 v0, v5, v0, v8
	v_add3_u32 v4, v3, v2, v4
	;; [unrolled: 1-line block ×3, first 2 shown]
	s_cbranch_scc1 .LBB5_8
; %bb.9:
	v_mov_b32_e32 v1, v4
	s_and_b32 s14, s31, 3
	s_cmp_eq_u32 s14, 0
	s_cbranch_scc0 .LBB5_11
	s_branch .LBB5_13
.LBB5_10:
	v_mov_b32_e32 v2, 0
	s_mov_b32 s4, 0
	v_mov_b32_e32 v1, v2
                                        ; implicit-def: $vgpr4
	v_mov_b32_e32 v6, v10
	v_mov_b32_e32 v0, v2
	s_and_b32 s14, s31, 3
	s_cmp_eq_u32 s14, 0
	s_cbranch_scc1 .LBB5_13
.LBB5_11:
	s_mul_i32 s4, s4, 12
	s_add_u32 s4, s11, s4
	s_addc_u32 s13, s33, 0
	s_add_u32 s12, s4, 4
	s_addc_u32 s13, s13, 0
.LBB5_12:                               ; =>This Inner Loop Header: Depth=1
	s_load_dwordx2 s[16:17], s[12:13], 0x0
	s_load_dword s4, s[12:13], 0x8
	s_load_dwordx2 s[18:19], s[12:13], 0xc0
	s_load_dword s15, s[12:13], 0xc8
	v_mov_b32_e32 v4, v1
	s_waitcnt lgkmcnt(0)
	v_mul_hi_u32 v1, s17, v6
	v_add_u32_e32 v1, v6, v1
	v_lshrrev_b32_e32 v1, s4, v1
	v_mul_lo_u32 v3, v1, s16
	s_add_u32 s12, s12, 12
	v_sub_u32_e32 v3, v6, v3
	s_addc_u32 s13, s13, 0
	s_add_i32 s14, s14, -1
	v_mov_b32_e32 v6, v1
	v_mad_u64_u32 v[0:1], s[16:17], v3, s18, v[0:1]
	v_mad_u64_u32 v[4:5], s[16:17], v3, s15, v[4:5]
	s_cmp_lg_u32 s14, 0
	v_mad_u64_u32 v[2:3], s[16:17], v3, s19, v[2:3]
	v_mov_b32_e32 v1, v4
	s_cbranch_scc1 .LBB5_12
.LBB5_13:
	s_mov_b64 s[12:13], 0
.LBB5_14:
	s_andn2_b64 vcc, exec, s[12:13]
	s_cbranch_vccnz .LBB5_17
; %bb.15:
	v_mul_hi_u32 v0, s6, v10
	v_add_u32_e32 v0, v10, v0
	v_lshrrev_b32_e32 v1, s7, v0
	v_mul_lo_u32 v0, v1, s5
	v_sub_u32_e32 v2, v10, v0
	v_mul_lo_u32 v0, v2, s40
	v_mul_lo_u32 v4, v2, s42
	s_andn2_b64 vcc, exec, s[56:57]
	v_mul_lo_u32 v2, v2, s41
	s_cbranch_vccnz .LBB5_17
; %bb.16:
	v_mul_hi_u32 v3, s9, v1
	v_add_u32_e32 v3, v1, v3
	v_lshrrev_b32_e32 v3, s10, v3
	v_mul_lo_u32 v3, v3, s8
	v_sub_u32_e32 v5, v1, v3
	v_mad_u64_u32 v[0:1], s[12:13], v5, s43, v[0:1]
	v_mad_u64_u32 v[2:3], s[12:13], v5, s54, v[2:3]
	;; [unrolled: 1-line block ×3, first 2 shown]
.LBB5_17:
	s_andn2_b64 vcc, exec, s[52:53]
	s_cbranch_vccnz .LBB5_20
; %bb.18:
	s_waitcnt lgkmcnt(0)
	global_load_dwordx2 v[6:7], v0, s[36:37]
	v_mov_b32_e32 v1, 0
	v_mov_b32_e32 v3, v1
	;; [unrolled: 1-line block ×3, first 2 shown]
	s_ashr_i32 s31, s30, 31
	s_ashr_i32 s15, s29, 31
	s_mov_b32 s14, s29
	v_lshl_add_u64 v[8:9], s[36:37], 0, v[0:1]
	v_lshl_add_u64 v[2:3], s[38:39], 0, v[2:3]
	v_lshl_add_u64 v[0:1], s[34:35], 0, v[4:5]
	s_lshl_b64 s[12:13], s[30:31], 3
	s_lshl_b64 s[14:15], s[14:15], 3
	s_mov_b32 s4, s28
.LBB5_19:                               ; =>This Inner Loop Header: Depth=1
	global_load_dwordx2 v[4:5], v[2:3], off
	global_load_dwordx2 v[12:13], v[0:1], off
	s_add_i32 s4, s4, -1
	v_lshl_add_u64 v[0:1], v[0:1], 0, s[12:13]
	v_lshl_add_u64 v[2:3], v[2:3], 0, s[14:15]
	s_cmp_lg_u32 s4, 0
	s_waitcnt vmcnt(0)
	v_fmac_f64_e32 v[6:7], v[4:5], v[12:13]
	global_store_dwordx2 v[8:9], v[6:7], off
	s_cbranch_scc1 .LBB5_19
.LBB5_20:
	v_add_u32_e32 v10, 0x100, v10
	s_or_b64 exec, exec, s[60:61]
	v_cmp_gt_i32_e32 vcc, s66, v10
	s_and_saveexec_b64 s[60:61], vcc
	s_cbranch_execz .LBB5_2
.LBB5_21:
	s_and_b64 vcc, exec, s[0:1]
	s_cbranch_vccnz .LBB5_27
; %bb.22:
	v_mov_b32_e32 v4, 0
	s_andn2_b64 vcc, exec, s[2:3]
	v_mov_b32_e32 v2, 0
	v_mov_b32_e32 v0, 0
	s_cbranch_vccnz .LBB5_31
; %bb.23:
	s_add_i32 s31, s65, 1
	s_cmp_eq_u32 s64, 2
	s_cbranch_scc1 .LBB5_28
; %bb.24:
	s_and_b32 s4, s31, 28
	v_mov_b32_e32 v0, 0
	s_mov_b32 s67, 0
	s_mov_b64 s[62:63], s[58:59]
	v_mov_b32_e32 v6, v10
	v_mov_b32_e32 v2, 0
	;; [unrolled: 1-line block ×3, first 2 shown]
.LBB5_25:                               ; =>This Inner Loop Header: Depth=1
	s_load_dwordx8 s[12:19], s[62:63], 0x0
	s_load_dwordx4 s[44:47], s[62:63], 0x20
	s_load_dwordx4 s[48:51], s[62:63], 0xe0
	s_load_dwordx8 s[20:27], s[62:63], 0xc0
	s_add_i32 s67, s67, 4
	s_waitcnt lgkmcnt(0)
	v_mul_hi_u32 v1, s13, v6
	v_add_u32_e32 v1, v6, v1
	v_lshrrev_b32_e32 v1, s14, v1
	v_mul_hi_u32 v5, s16, v1
	v_add_u32_e32 v5, v1, v5
	v_lshrrev_b32_e32 v5, s17, v5
	v_mul_lo_u32 v3, v1, s12
	v_mul_lo_u32 v8, v5, s15
	v_mul_hi_u32 v9, s19, v5
	v_sub_u32_e32 v3, v6, v3
	v_sub_u32_e32 v1, v1, v8
	v_add_u32_e32 v8, v5, v9
	v_mul_lo_u32 v6, v3, s20
	v_mul_lo_u32 v7, v3, s22
	;; [unrolled: 1-line block ×6, first 2 shown]
	v_lshrrev_b32_e32 v8, s44, v8
	v_add3_u32 v1, v3, v2, v1
	v_add3_u32 v2, v7, v4, v11
	v_mul_hi_u32 v4, s46, v8
	v_add_u32_e32 v4, v8, v4
	v_add3_u32 v0, v6, v0, v9
	v_lshrrev_b32_e32 v6, s47, v4
	v_mul_lo_u32 v3, v8, s18
	v_mul_lo_u32 v4, v6, s45
	s_add_u32 s62, s62, 48
	v_sub_u32_e32 v3, v5, v3
	v_sub_u32_e32 v4, v8, v4
	s_addc_u32 s63, s63, 0
	v_mul_lo_u32 v5, v3, s26
	v_mul_lo_u32 v7, v3, s27
	;; [unrolled: 1-line block ×6, first 2 shown]
	s_cmp_eq_u32 s4, s67
	v_add3_u32 v0, v5, v0, v8
	v_add3_u32 v4, v3, v2, v4
	;; [unrolled: 1-line block ×3, first 2 shown]
	s_cbranch_scc0 .LBB5_25
; %bb.26:
	v_mov_b32_e32 v1, v4
	s_and_b32 s14, s31, 3
	s_cmp_eq_u32 s14, 0
	s_cbranch_scc0 .LBB5_29
	s_branch .LBB5_31
.LBB5_27:
                                        ; implicit-def: $vgpr4
                                        ; implicit-def: $vgpr2
                                        ; implicit-def: $vgpr0
	s_branch .LBB5_32
.LBB5_28:
	v_mov_b32_e32 v2, 0
	s_mov_b32 s4, 0
	v_mov_b32_e32 v1, v2
                                        ; implicit-def: $vgpr4
	v_mov_b32_e32 v6, v10
	v_mov_b32_e32 v0, v2
	s_and_b32 s14, s31, 3
	s_cmp_eq_u32 s14, 0
	s_cbranch_scc1 .LBB5_31
.LBB5_29:
	s_mul_i32 s4, s4, 12
	s_add_u32 s4, s11, s4
	s_addc_u32 s13, s33, 0
	s_add_u32 s12, s4, 4
	s_addc_u32 s13, s13, 0
.LBB5_30:                               ; =>This Inner Loop Header: Depth=1
	s_load_dwordx2 s[16:17], s[12:13], 0x0
	s_load_dword s4, s[12:13], 0x8
	s_load_dwordx2 s[18:19], s[12:13], 0xc0
	s_load_dword s15, s[12:13], 0xc8
	v_mov_b32_e32 v4, v1
	s_waitcnt lgkmcnt(0)
	v_mul_hi_u32 v1, s17, v6
	v_add_u32_e32 v1, v6, v1
	v_lshrrev_b32_e32 v1, s4, v1
	v_mul_lo_u32 v3, v1, s16
	s_add_u32 s12, s12, 12
	v_sub_u32_e32 v3, v6, v3
	s_addc_u32 s13, s13, 0
	s_add_i32 s14, s14, -1
	v_mov_b32_e32 v6, v1
	v_mad_u64_u32 v[0:1], s[16:17], v3, s18, v[0:1]
	v_mad_u64_u32 v[4:5], s[16:17], v3, s15, v[4:5]
	s_cmp_lg_u32 s14, 0
	v_mad_u64_u32 v[2:3], s[16:17], v3, s19, v[2:3]
	v_mov_b32_e32 v1, v4
	s_cbranch_scc1 .LBB5_30
.LBB5_31:
	s_cbranch_execnz .LBB5_34
.LBB5_32:
	v_mul_hi_u32 v0, s6, v10
	v_add_u32_e32 v0, v10, v0
	v_lshrrev_b32_e32 v1, s7, v0
	v_mul_lo_u32 v0, v1, s5
	v_sub_u32_e32 v2, v10, v0
	v_mul_lo_u32 v0, v2, s40
	v_mul_lo_u32 v4, v2, s42
	s_andn2_b64 vcc, exec, s[56:57]
	v_mul_lo_u32 v2, v2, s41
	s_cbranch_vccnz .LBB5_34
; %bb.33:
	v_mul_hi_u32 v3, s9, v1
	v_add_u32_e32 v3, v1, v3
	v_lshrrev_b32_e32 v3, s10, v3
	v_mul_lo_u32 v3, v3, s8
	v_sub_u32_e32 v5, v1, v3
	v_mad_u64_u32 v[0:1], s[12:13], v5, s43, v[0:1]
	v_mad_u64_u32 v[2:3], s[12:13], v5, s54, v[2:3]
	v_mad_u64_u32 v[4:5], s[12:13], v5, s55, v[4:5]
.LBB5_34:
	s_andn2_b64 vcc, exec, s[52:53]
	s_cbranch_vccnz .LBB5_37
; %bb.35:
	s_waitcnt lgkmcnt(0)
	global_load_dwordx2 v[6:7], v0, s[36:37]
	v_mov_b32_e32 v1, 0
	v_mov_b32_e32 v3, v1
	;; [unrolled: 1-line block ×3, first 2 shown]
	s_ashr_i32 s31, s30, 31
	s_ashr_i32 s15, s29, 31
	s_mov_b32 s14, s29
	v_lshl_add_u64 v[8:9], s[36:37], 0, v[0:1]
	v_lshl_add_u64 v[2:3], s[38:39], 0, v[2:3]
	;; [unrolled: 1-line block ×3, first 2 shown]
	s_lshl_b64 s[12:13], s[30:31], 3
	s_lshl_b64 s[14:15], s[14:15], 3
	s_mov_b32 s4, s28
.LBB5_36:                               ; =>This Inner Loop Header: Depth=1
	global_load_dwordx2 v[4:5], v[2:3], off
	global_load_dwordx2 v[12:13], v[0:1], off
	s_add_i32 s4, s4, -1
	v_lshl_add_u64 v[0:1], v[0:1], 0, s[12:13]
	v_lshl_add_u64 v[2:3], v[2:3], 0, s[14:15]
	s_cmp_lg_u32 s4, 0
	s_waitcnt vmcnt(0)
	v_fmac_f64_e32 v[6:7], v[4:5], v[12:13]
	global_store_dwordx2 v[8:9], v[6:7], off
	s_cbranch_scc1 .LBB5_36
.LBB5_37:
	v_add_u32_e32 v10, 0x100, v10
	s_or_b64 exec, exec, s[60:61]
	v_cmp_gt_i32_e32 vcc, s66, v10
	s_and_saveexec_b64 s[60:61], vcc
	s_cbranch_execz .LBB5_3
.LBB5_38:
	s_and_b64 vcc, exec, s[0:1]
	s_cbranch_vccnz .LBB5_44
; %bb.39:
	v_mov_b32_e32 v4, 0
	s_andn2_b64 vcc, exec, s[2:3]
	v_mov_b32_e32 v2, 0
	v_mov_b32_e32 v0, 0
	s_cbranch_vccnz .LBB5_48
; %bb.40:
	s_add_i32 s31, s65, 1
	s_cmp_eq_u32 s64, 2
	s_cbranch_scc1 .LBB5_45
; %bb.41:
	s_and_b32 s4, s31, 28
	v_mov_b32_e32 v0, 0
	s_mov_b32 s67, 0
	s_mov_b64 s[62:63], s[58:59]
	v_mov_b32_e32 v6, v10
	v_mov_b32_e32 v2, 0
	;; [unrolled: 1-line block ×3, first 2 shown]
.LBB5_42:                               ; =>This Inner Loop Header: Depth=1
	s_load_dwordx8 s[12:19], s[62:63], 0x0
	s_load_dwordx4 s[44:47], s[62:63], 0x20
	s_load_dwordx4 s[48:51], s[62:63], 0xe0
	s_load_dwordx8 s[20:27], s[62:63], 0xc0
	s_add_i32 s67, s67, 4
	s_waitcnt lgkmcnt(0)
	v_mul_hi_u32 v1, s13, v6
	v_add_u32_e32 v1, v6, v1
	v_lshrrev_b32_e32 v1, s14, v1
	v_mul_hi_u32 v5, s16, v1
	v_add_u32_e32 v5, v1, v5
	v_lshrrev_b32_e32 v5, s17, v5
	v_mul_lo_u32 v3, v1, s12
	v_mul_lo_u32 v8, v5, s15
	v_mul_hi_u32 v9, s19, v5
	v_sub_u32_e32 v3, v6, v3
	v_sub_u32_e32 v1, v1, v8
	v_add_u32_e32 v8, v5, v9
	v_mul_lo_u32 v6, v3, s20
	v_mul_lo_u32 v7, v3, s22
	;; [unrolled: 1-line block ×6, first 2 shown]
	v_lshrrev_b32_e32 v8, s44, v8
	v_add3_u32 v1, v3, v2, v1
	v_add3_u32 v2, v7, v4, v11
	v_mul_hi_u32 v4, s46, v8
	v_add_u32_e32 v4, v8, v4
	v_add3_u32 v0, v6, v0, v9
	v_lshrrev_b32_e32 v6, s47, v4
	v_mul_lo_u32 v3, v8, s18
	v_mul_lo_u32 v4, v6, s45
	s_add_u32 s62, s62, 48
	v_sub_u32_e32 v3, v5, v3
	v_sub_u32_e32 v4, v8, v4
	s_addc_u32 s63, s63, 0
	v_mul_lo_u32 v5, v3, s26
	v_mul_lo_u32 v7, v3, s27
	;; [unrolled: 1-line block ×6, first 2 shown]
	s_cmp_eq_u32 s4, s67
	v_add3_u32 v0, v5, v0, v8
	v_add3_u32 v4, v3, v2, v4
	;; [unrolled: 1-line block ×3, first 2 shown]
	s_cbranch_scc0 .LBB5_42
; %bb.43:
	v_mov_b32_e32 v1, v4
	s_and_b32 s14, s31, 3
	s_cmp_eq_u32 s14, 0
	s_cbranch_scc0 .LBB5_46
	s_branch .LBB5_48
.LBB5_44:
                                        ; implicit-def: $vgpr4
                                        ; implicit-def: $vgpr2
                                        ; implicit-def: $vgpr0
	s_branch .LBB5_49
.LBB5_45:
	v_mov_b32_e32 v2, 0
	s_mov_b32 s4, 0
	v_mov_b32_e32 v1, v2
                                        ; implicit-def: $vgpr4
	v_mov_b32_e32 v6, v10
	v_mov_b32_e32 v0, v2
	s_and_b32 s14, s31, 3
	s_cmp_eq_u32 s14, 0
	s_cbranch_scc1 .LBB5_48
.LBB5_46:
	s_mul_i32 s4, s4, 12
	s_add_u32 s4, s11, s4
	s_addc_u32 s13, s33, 0
	s_add_u32 s12, s4, 4
	s_addc_u32 s13, s13, 0
.LBB5_47:                               ; =>This Inner Loop Header: Depth=1
	s_load_dwordx2 s[16:17], s[12:13], 0x0
	s_load_dword s4, s[12:13], 0x8
	s_load_dwordx2 s[18:19], s[12:13], 0xc0
	s_load_dword s15, s[12:13], 0xc8
	v_mov_b32_e32 v4, v1
	s_waitcnt lgkmcnt(0)
	v_mul_hi_u32 v1, s17, v6
	v_add_u32_e32 v1, v6, v1
	v_lshrrev_b32_e32 v1, s4, v1
	v_mul_lo_u32 v3, v1, s16
	s_add_u32 s12, s12, 12
	v_sub_u32_e32 v3, v6, v3
	s_addc_u32 s13, s13, 0
	s_add_i32 s14, s14, -1
	v_mov_b32_e32 v6, v1
	v_mad_u64_u32 v[0:1], s[16:17], v3, s18, v[0:1]
	v_mad_u64_u32 v[4:5], s[16:17], v3, s15, v[4:5]
	s_cmp_lg_u32 s14, 0
	v_mad_u64_u32 v[2:3], s[16:17], v3, s19, v[2:3]
	v_mov_b32_e32 v1, v4
	s_cbranch_scc1 .LBB5_47
.LBB5_48:
	s_cbranch_execnz .LBB5_51
.LBB5_49:
	v_mul_hi_u32 v0, s6, v10
	v_add_u32_e32 v0, v10, v0
	v_lshrrev_b32_e32 v1, s7, v0
	v_mul_lo_u32 v0, v1, s5
	v_sub_u32_e32 v2, v10, v0
	v_mul_lo_u32 v0, v2, s40
	v_mul_lo_u32 v4, v2, s42
	s_andn2_b64 vcc, exec, s[56:57]
	v_mul_lo_u32 v2, v2, s41
	s_cbranch_vccnz .LBB5_51
; %bb.50:
	v_mul_hi_u32 v3, s9, v1
	v_add_u32_e32 v3, v1, v3
	v_lshrrev_b32_e32 v3, s10, v3
	v_mul_lo_u32 v3, v3, s8
	v_sub_u32_e32 v5, v1, v3
	v_mad_u64_u32 v[0:1], s[12:13], v5, s43, v[0:1]
	v_mad_u64_u32 v[2:3], s[12:13], v5, s54, v[2:3]
	;; [unrolled: 1-line block ×3, first 2 shown]
.LBB5_51:
	s_andn2_b64 vcc, exec, s[52:53]
	s_cbranch_vccnz .LBB5_54
; %bb.52:
	s_waitcnt lgkmcnt(0)
	global_load_dwordx2 v[6:7], v0, s[36:37]
	v_mov_b32_e32 v1, 0
	v_mov_b32_e32 v3, v1
	;; [unrolled: 1-line block ×3, first 2 shown]
	s_ashr_i32 s31, s30, 31
	s_ashr_i32 s15, s29, 31
	s_mov_b32 s14, s29
	v_lshl_add_u64 v[8:9], s[36:37], 0, v[0:1]
	v_lshl_add_u64 v[2:3], s[38:39], 0, v[2:3]
	;; [unrolled: 1-line block ×3, first 2 shown]
	s_lshl_b64 s[12:13], s[30:31], 3
	s_lshl_b64 s[14:15], s[14:15], 3
	s_mov_b32 s4, s28
.LBB5_53:                               ; =>This Inner Loop Header: Depth=1
	global_load_dwordx2 v[4:5], v[2:3], off
	global_load_dwordx2 v[12:13], v[0:1], off
	s_add_i32 s4, s4, -1
	v_lshl_add_u64 v[0:1], v[0:1], 0, s[12:13]
	v_lshl_add_u64 v[2:3], v[2:3], 0, s[14:15]
	s_cmp_lg_u32 s4, 0
	s_waitcnt vmcnt(0)
	v_fmac_f64_e32 v[6:7], v[4:5], v[12:13]
	global_store_dwordx2 v[8:9], v[6:7], off
	s_cbranch_scc1 .LBB5_53
.LBB5_54:
	v_add_u32_e32 v10, 0x100, v10
	s_or_b64 exec, exec, s[60:61]
	v_cmp_gt_i32_e32 vcc, s66, v10
	s_and_saveexec_b64 s[12:13], vcc
	s_cbranch_execz .LBB5_71
.LBB5_55:
	s_and_b64 vcc, exec, s[0:1]
	s_cbranch_vccnz .LBB5_61
; %bb.56:
	v_mov_b32_e32 v4, 0
	s_andn2_b64 vcc, exec, s[2:3]
	v_mov_b32_e32 v2, 0
	v_mov_b32_e32 v0, 0
	s_cbranch_vccnz .LBB5_65
; %bb.57:
	s_add_i32 s65, s65, 1
	s_cmp_eq_u32 s64, 2
	s_cbranch_scc1 .LBB5_62
; %bb.58:
	s_and_b32 s4, s65, 28
	v_mov_b32_e32 v0, 0
	s_mov_b32 s31, 0
	v_mov_b32_e32 v6, v10
	v_mov_b32_e32 v2, 0
	;; [unrolled: 1-line block ×3, first 2 shown]
.LBB5_59:                               ; =>This Inner Loop Header: Depth=1
	s_load_dwordx8 s[12:19], s[58:59], 0x0
	s_load_dwordx4 s[0:3], s[58:59], 0x20
	s_load_dwordx4 s[44:47], s[58:59], 0xe0
	s_load_dwordx8 s[20:27], s[58:59], 0xc0
	s_add_i32 s31, s31, 4
	s_waitcnt lgkmcnt(0)
	v_mul_hi_u32 v1, s13, v6
	v_add_u32_e32 v1, v6, v1
	v_lshrrev_b32_e32 v1, s14, v1
	v_mul_hi_u32 v5, s16, v1
	v_add_u32_e32 v5, v1, v5
	v_lshrrev_b32_e32 v5, s17, v5
	v_mul_lo_u32 v3, v1, s12
	v_mul_lo_u32 v8, v5, s15
	v_mul_hi_u32 v9, s19, v5
	v_sub_u32_e32 v3, v6, v3
	v_sub_u32_e32 v1, v1, v8
	v_add_u32_e32 v8, v5, v9
	v_mul_lo_u32 v6, v3, s20
	v_mul_lo_u32 v7, v3, s22
	;; [unrolled: 1-line block ×6, first 2 shown]
	v_lshrrev_b32_e32 v8, s0, v8
	v_add3_u32 v1, v3, v2, v1
	v_add3_u32 v2, v7, v4, v11
	v_mul_hi_u32 v4, s2, v8
	v_add_u32_e32 v4, v8, v4
	v_add3_u32 v0, v6, v0, v9
	v_lshrrev_b32_e32 v6, s3, v4
	v_mul_lo_u32 v3, v8, s18
	v_mul_lo_u32 v4, v6, s1
	s_add_u32 s58, s58, 48
	v_sub_u32_e32 v3, v5, v3
	v_sub_u32_e32 v4, v8, v4
	s_addc_u32 s59, s59, 0
	v_mul_lo_u32 v5, v3, s26
	v_mul_lo_u32 v7, v3, s27
	v_mul_lo_u32 v3, v3, s44
	v_mul_lo_u32 v8, v4, s45
	v_mul_lo_u32 v9, v4, s46
	v_mul_lo_u32 v4, v4, s47
	s_cmp_eq_u32 s4, s31
	v_add3_u32 v0, v5, v0, v8
	v_add3_u32 v4, v3, v2, v4
	;; [unrolled: 1-line block ×3, first 2 shown]
	s_cbranch_scc0 .LBB5_59
; %bb.60:
	v_mov_b32_e32 v1, v4
	s_and_b32 s2, s65, 3
	s_cmp_eq_u32 s2, 0
	s_cbranch_scc0 .LBB5_63
	s_branch .LBB5_65
.LBB5_61:
                                        ; implicit-def: $vgpr4
                                        ; implicit-def: $vgpr2
                                        ; implicit-def: $vgpr0
	s_branch .LBB5_66
.LBB5_62:
	v_mov_b32_e32 v2, 0
	s_mov_b32 s4, 0
	v_mov_b32_e32 v1, v2
                                        ; implicit-def: $vgpr4
	v_mov_b32_e32 v6, v10
	v_mov_b32_e32 v0, v2
	s_and_b32 s2, s65, 3
	s_cmp_eq_u32 s2, 0
	s_cbranch_scc1 .LBB5_65
.LBB5_63:
	s_mul_i32 s0, s4, 12
	s_add_u32 s0, s11, s0
	s_addc_u32 s1, s33, 0
	s_add_u32 s0, s0, 4
	s_addc_u32 s1, s1, 0
.LBB5_64:                               ; =>This Inner Loop Header: Depth=1
	s_load_dwordx2 s[12:13], s[0:1], 0x0
	s_load_dword s3, s[0:1], 0x8
	s_load_dwordx2 s[14:15], s[0:1], 0xc0
	s_load_dword s4, s[0:1], 0xc8
	v_mov_b32_e32 v4, v1
	s_waitcnt lgkmcnt(0)
	v_mul_hi_u32 v1, s13, v6
	v_add_u32_e32 v1, v6, v1
	v_lshrrev_b32_e32 v1, s3, v1
	v_mul_lo_u32 v3, v1, s12
	s_add_u32 s0, s0, 12
	v_sub_u32_e32 v3, v6, v3
	s_addc_u32 s1, s1, 0
	s_add_i32 s2, s2, -1
	v_mov_b32_e32 v6, v1
	v_mad_u64_u32 v[0:1], s[12:13], v3, s14, v[0:1]
	v_mad_u64_u32 v[4:5], s[12:13], v3, s4, v[4:5]
	s_cmp_lg_u32 s2, 0
	v_mad_u64_u32 v[2:3], s[12:13], v3, s15, v[2:3]
	v_mov_b32_e32 v1, v4
	s_cbranch_scc1 .LBB5_64
.LBB5_65:
	s_cbranch_execnz .LBB5_68
.LBB5_66:
	v_mul_hi_u32 v0, s6, v10
	v_add_u32_e32 v0, v10, v0
	v_lshrrev_b32_e32 v1, s7, v0
	v_mul_lo_u32 v0, v1, s5
	v_sub_u32_e32 v2, v10, v0
	v_mul_lo_u32 v0, v2, s40
	v_mul_lo_u32 v4, v2, s42
	s_andn2_b64 vcc, exec, s[56:57]
	v_mul_lo_u32 v2, v2, s41
	s_cbranch_vccnz .LBB5_68
; %bb.67:
	v_mul_hi_u32 v3, s9, v1
	v_add_u32_e32 v3, v1, v3
	v_lshrrev_b32_e32 v3, s10, v3
	v_mul_lo_u32 v3, v3, s8
	v_sub_u32_e32 v5, v1, v3
	v_mad_u64_u32 v[0:1], s[0:1], v5, s43, v[0:1]
	v_mad_u64_u32 v[2:3], s[0:1], v5, s54, v[2:3]
	;; [unrolled: 1-line block ×3, first 2 shown]
.LBB5_68:
	s_andn2_b64 vcc, exec, s[52:53]
	s_cbranch_vccnz .LBB5_71
; %bb.69:
	s_waitcnt lgkmcnt(0)
	global_load_dwordx2 v[6:7], v0, s[36:37]
	v_mov_b32_e32 v1, 0
	v_mov_b32_e32 v3, v1
	;; [unrolled: 1-line block ×3, first 2 shown]
	s_ashr_i32 s31, s30, 31
	s_ashr_i32 s3, s29, 31
	s_mov_b32 s2, s29
	v_lshl_add_u64 v[8:9], s[36:37], 0, v[0:1]
	v_lshl_add_u64 v[2:3], s[38:39], 0, v[2:3]
	;; [unrolled: 1-line block ×3, first 2 shown]
	s_lshl_b64 s[0:1], s[30:31], 3
	s_lshl_b64 s[2:3], s[2:3], 3
.LBB5_70:                               ; =>This Inner Loop Header: Depth=1
	global_load_dwordx2 v[4:5], v[2:3], off
	global_load_dwordx2 v[10:11], v[0:1], off
	s_add_i32 s28, s28, -1
	v_lshl_add_u64 v[0:1], v[0:1], 0, s[0:1]
	v_lshl_add_u64 v[2:3], v[2:3], 0, s[2:3]
	s_cmp_lg_u32 s28, 0
	s_waitcnt vmcnt(0)
	v_fmac_f64_e32 v[6:7], v[4:5], v[10:11]
	global_store_dwordx2 v[8:9], v[6:7], off
	s_cbranch_scc1 .LBB5_70
.LBB5_71:
	s_endpgm
	.section	.rodata,"a",@progbits
	.p2align	6, 0x0
	.amdhsa_kernel _ZN2at6native12_GLOBAL__N_116_elemwise_kernelILi256ELi4EZNS1_43_compute_linear_combination_internal_kernelIdEEvRNS_14TensorIteratorEiiiEUliE_EEviT1_
		.amdhsa_group_segment_fixed_size 0
		.amdhsa_private_segment_fixed_size 0
		.amdhsa_kernarg_size 440
		.amdhsa_user_sgpr_count 2
		.amdhsa_user_sgpr_dispatch_ptr 0
		.amdhsa_user_sgpr_queue_ptr 0
		.amdhsa_user_sgpr_kernarg_segment_ptr 1
		.amdhsa_user_sgpr_dispatch_id 0
		.amdhsa_user_sgpr_kernarg_preload_length 0
		.amdhsa_user_sgpr_kernarg_preload_offset 0
		.amdhsa_user_sgpr_private_segment_size 0
		.amdhsa_uses_dynamic_stack 0
		.amdhsa_enable_private_segment 0
		.amdhsa_system_sgpr_workgroup_id_x 1
		.amdhsa_system_sgpr_workgroup_id_y 0
		.amdhsa_system_sgpr_workgroup_id_z 0
		.amdhsa_system_sgpr_workgroup_info 0
		.amdhsa_system_vgpr_workitem_id 0
		.amdhsa_next_free_vgpr 14
		.amdhsa_next_free_sgpr 68
		.amdhsa_accum_offset 16
		.amdhsa_reserve_vcc 1
		.amdhsa_float_round_mode_32 0
		.amdhsa_float_round_mode_16_64 0
		.amdhsa_float_denorm_mode_32 3
		.amdhsa_float_denorm_mode_16_64 3
		.amdhsa_dx10_clamp 1
		.amdhsa_ieee_mode 1
		.amdhsa_fp16_overflow 0
		.amdhsa_tg_split 0
		.amdhsa_exception_fp_ieee_invalid_op 0
		.amdhsa_exception_fp_denorm_src 0
		.amdhsa_exception_fp_ieee_div_zero 0
		.amdhsa_exception_fp_ieee_overflow 0
		.amdhsa_exception_fp_ieee_underflow 0
		.amdhsa_exception_fp_ieee_inexact 0
		.amdhsa_exception_int_div_zero 0
	.end_amdhsa_kernel
	.section	.text._ZN2at6native12_GLOBAL__N_116_elemwise_kernelILi256ELi4EZNS1_43_compute_linear_combination_internal_kernelIdEEvRNS_14TensorIteratorEiiiEUliE_EEviT1_,"axG",@progbits,_ZN2at6native12_GLOBAL__N_116_elemwise_kernelILi256ELi4EZNS1_43_compute_linear_combination_internal_kernelIdEEvRNS_14TensorIteratorEiiiEUliE_EEviT1_,comdat
.Lfunc_end5:
	.size	_ZN2at6native12_GLOBAL__N_116_elemwise_kernelILi256ELi4EZNS1_43_compute_linear_combination_internal_kernelIdEEvRNS_14TensorIteratorEiiiEUliE_EEviT1_, .Lfunc_end5-_ZN2at6native12_GLOBAL__N_116_elemwise_kernelILi256ELi4EZNS1_43_compute_linear_combination_internal_kernelIdEEvRNS_14TensorIteratorEiiiEUliE_EEviT1_
                                        ; -- End function
	.set _ZN2at6native12_GLOBAL__N_116_elemwise_kernelILi256ELi4EZNS1_43_compute_linear_combination_internal_kernelIdEEvRNS_14TensorIteratorEiiiEUliE_EEviT1_.num_vgpr, 14
	.set _ZN2at6native12_GLOBAL__N_116_elemwise_kernelILi256ELi4EZNS1_43_compute_linear_combination_internal_kernelIdEEvRNS_14TensorIteratorEiiiEUliE_EEviT1_.num_agpr, 0
	.set _ZN2at6native12_GLOBAL__N_116_elemwise_kernelILi256ELi4EZNS1_43_compute_linear_combination_internal_kernelIdEEvRNS_14TensorIteratorEiiiEUliE_EEviT1_.numbered_sgpr, 68
	.set _ZN2at6native12_GLOBAL__N_116_elemwise_kernelILi256ELi4EZNS1_43_compute_linear_combination_internal_kernelIdEEvRNS_14TensorIteratorEiiiEUliE_EEviT1_.num_named_barrier, 0
	.set _ZN2at6native12_GLOBAL__N_116_elemwise_kernelILi256ELi4EZNS1_43_compute_linear_combination_internal_kernelIdEEvRNS_14TensorIteratorEiiiEUliE_EEviT1_.private_seg_size, 0
	.set _ZN2at6native12_GLOBAL__N_116_elemwise_kernelILi256ELi4EZNS1_43_compute_linear_combination_internal_kernelIdEEvRNS_14TensorIteratorEiiiEUliE_EEviT1_.uses_vcc, 1
	.set _ZN2at6native12_GLOBAL__N_116_elemwise_kernelILi256ELi4EZNS1_43_compute_linear_combination_internal_kernelIdEEvRNS_14TensorIteratorEiiiEUliE_EEviT1_.uses_flat_scratch, 0
	.set _ZN2at6native12_GLOBAL__N_116_elemwise_kernelILi256ELi4EZNS1_43_compute_linear_combination_internal_kernelIdEEvRNS_14TensorIteratorEiiiEUliE_EEviT1_.has_dyn_sized_stack, 0
	.set _ZN2at6native12_GLOBAL__N_116_elemwise_kernelILi256ELi4EZNS1_43_compute_linear_combination_internal_kernelIdEEvRNS_14TensorIteratorEiiiEUliE_EEviT1_.has_recursion, 0
	.set _ZN2at6native12_GLOBAL__N_116_elemwise_kernelILi256ELi4EZNS1_43_compute_linear_combination_internal_kernelIdEEvRNS_14TensorIteratorEiiiEUliE_EEviT1_.has_indirect_call, 0
	.section	.AMDGPU.csdata,"",@progbits
; Kernel info:
; codeLenInByte = 3616
; TotalNumSgprs: 74
; NumVgprs: 14
; NumAgprs: 0
; TotalNumVgprs: 14
; ScratchSize: 0
; MemoryBound: 0
; FloatMode: 240
; IeeeMode: 1
; LDSByteSize: 0 bytes/workgroup (compile time only)
; SGPRBlocks: 9
; VGPRBlocks: 1
; NumSGPRsForWavesPerEU: 74
; NumVGPRsForWavesPerEU: 14
; AccumOffset: 16
; Occupancy: 8
; WaveLimiterHint : 1
; COMPUTE_PGM_RSRC2:SCRATCH_EN: 0
; COMPUTE_PGM_RSRC2:USER_SGPR: 2
; COMPUTE_PGM_RSRC2:TRAP_HANDLER: 0
; COMPUTE_PGM_RSRC2:TGID_X_EN: 1
; COMPUTE_PGM_RSRC2:TGID_Y_EN: 0
; COMPUTE_PGM_RSRC2:TGID_Z_EN: 0
; COMPUTE_PGM_RSRC2:TIDIG_COMP_CNT: 0
; COMPUTE_PGM_RSRC3_GFX90A:ACCUM_OFFSET: 3
; COMPUTE_PGM_RSRC3_GFX90A:TG_SPLIT: 0
	.section	.text._ZN2at6native12_GLOBAL__N_116_elemwise_kernelILi256ELi4EZNS1_43_compute_linear_combination_internal_kernelIfEEvRNS_14TensorIteratorEiiiEUliE_EEviT1_,"axG",@progbits,_ZN2at6native12_GLOBAL__N_116_elemwise_kernelILi256ELi4EZNS1_43_compute_linear_combination_internal_kernelIfEEvRNS_14TensorIteratorEiiiEUliE_EEviT1_,comdat
	.globl	_ZN2at6native12_GLOBAL__N_116_elemwise_kernelILi256ELi4EZNS1_43_compute_linear_combination_internal_kernelIfEEvRNS_14TensorIteratorEiiiEUliE_EEviT1_ ; -- Begin function _ZN2at6native12_GLOBAL__N_116_elemwise_kernelILi256ELi4EZNS1_43_compute_linear_combination_internal_kernelIfEEvRNS_14TensorIteratorEiiiEUliE_EEviT1_
	.p2align	8
	.type	_ZN2at6native12_GLOBAL__N_116_elemwise_kernelILi256ELi4EZNS1_43_compute_linear_combination_internal_kernelIfEEvRNS_14TensorIteratorEiiiEUliE_EEviT1_,@function
_ZN2at6native12_GLOBAL__N_116_elemwise_kernelILi256ELi4EZNS1_43_compute_linear_combination_internal_kernelIfEEvRNS_14TensorIteratorEiiiEUliE_EEviT1_: ; @_ZN2at6native12_GLOBAL__N_116_elemwise_kernelILi256ELi4EZNS1_43_compute_linear_combination_internal_kernelIfEEvRNS_14TensorIteratorEiiiEUliE_EEviT1_
; %bb.0:
	s_load_dword s66, s[0:1], 0x0
	s_load_dwordx8 s[4:11], s[0:1], 0x8
	s_load_dwordx4 s[40:43], s[0:1], 0xcc
	s_load_dwordx2 s[54:55], s[0:1], 0xdc
	s_load_dwordx4 s[28:31], s[0:1], 0x1a8
	v_lshl_or_b32 v8, s2, 10, v0
	s_waitcnt lgkmcnt(0)
	s_add_u32 s11, s0, 8
	s_load_dwordx2 s[34:35], s[0:1], 0x1a0
	s_load_dwordx4 s[36:39], s[0:1], 0x190
	v_sub_co_u32_e64 v0, s[2:3], s4, 1
	s_nop 0
	v_readfirstlane_b32 s64, v0
	s_addc_u32 s33, s1, 0
	s_xor_b64 s[2:3], s[2:3], -1
	s_or_b32 s58, s0, 12
	s_min_u32 s65, s64, 15
	s_mov_b32 s59, s1
	s_cmp_gt_u32 s4, 1
	v_cmp_lt_u32_e64 s[0:1], 1, v0
	s_cselect_b64 s[56:57], -1, 0
	s_cmp_gt_i32 s28, 0
	v_cndmask_b32_e64 v0, 0, 1, s[0:1]
	s_mov_b64 s[12:13], -1
	s_cselect_b64 s[52:53], -1, 0
	v_cmp_gt_i32_e32 vcc, s66, v8
	v_cmp_ne_u32_e64 s[0:1], 1, v0
	s_and_saveexec_b64 s[60:61], vcc
	s_cbranch_execnz .LBB6_4
; %bb.1:
	s_or_b64 exec, exec, s[60:61]
	v_cmp_gt_i32_e32 vcc, s66, v8
	s_and_saveexec_b64 s[60:61], vcc
	s_cbranch_execnz .LBB6_21
.LBB6_2:
	s_or_b64 exec, exec, s[60:61]
	v_cmp_gt_i32_e32 vcc, s66, v8
	s_and_saveexec_b64 s[60:61], vcc
	s_cbranch_execnz .LBB6_38
.LBB6_3:
	s_or_b64 exec, exec, s[60:61]
	v_cmp_gt_i32_e32 vcc, s66, v8
	s_and_saveexec_b64 s[12:13], vcc
	s_cbranch_execnz .LBB6_55
	s_branch .LBB6_71
.LBB6_4:
	s_and_b64 vcc, exec, s[0:1]
                                        ; implicit-def: $vgpr4
                                        ; implicit-def: $vgpr2
                                        ; implicit-def: $vgpr0
	s_cbranch_vccnz .LBB6_14
; %bb.5:
	v_mov_b32_e32 v4, 0
	s_andn2_b64 vcc, exec, s[2:3]
	v_mov_b32_e32 v2, 0
	v_mov_b32_e32 v0, 0
	s_cbranch_vccnz .LBB6_13
; %bb.6:
	s_add_i32 s31, s65, 1
	s_cmp_eq_u32 s64, 2
	s_cbranch_scc1 .LBB6_10
; %bb.7:
	s_and_b32 s4, s31, 28
	v_mov_b32_e32 v0, 0
	s_mov_b32 s67, 0
	s_mov_b64 s[62:63], s[58:59]
	v_mov_b32_e32 v6, v8
	v_mov_b32_e32 v2, 0
	;; [unrolled: 1-line block ×3, first 2 shown]
.LBB6_8:                                ; =>This Inner Loop Header: Depth=1
	s_load_dwordx8 s[12:19], s[62:63], 0x0
	s_load_dwordx4 s[44:47], s[62:63], 0x20
	s_load_dwordx4 s[48:51], s[62:63], 0xe0
	s_load_dwordx8 s[20:27], s[62:63], 0xc0
	s_add_i32 s67, s67, 4
	s_waitcnt lgkmcnt(0)
	v_mul_hi_u32 v1, s13, v6
	v_add_u32_e32 v1, v6, v1
	v_lshrrev_b32_e32 v1, s14, v1
	v_mul_hi_u32 v5, s16, v1
	v_add_u32_e32 v5, v1, v5
	v_lshrrev_b32_e32 v5, s17, v5
	v_mul_lo_u32 v3, v1, s12
	v_mul_lo_u32 v9, v5, s15
	v_mul_hi_u32 v10, s19, v5
	v_sub_u32_e32 v3, v6, v3
	v_sub_u32_e32 v1, v1, v9
	v_add_u32_e32 v9, v5, v10
	v_mul_lo_u32 v6, v3, s20
	v_mul_lo_u32 v7, v3, s22
	;; [unrolled: 1-line block ×6, first 2 shown]
	v_lshrrev_b32_e32 v9, s44, v9
	v_add3_u32 v1, v3, v2, v1
	v_add3_u32 v2, v7, v4, v11
	v_mul_hi_u32 v4, s46, v9
	v_add_u32_e32 v4, v9, v4
	v_add3_u32 v0, v6, v0, v10
	v_lshrrev_b32_e32 v6, s47, v4
	v_mul_lo_u32 v3, v9, s18
	v_mul_lo_u32 v4, v6, s45
	s_add_u32 s62, s62, 48
	v_sub_u32_e32 v3, v5, v3
	v_sub_u32_e32 v4, v9, v4
	s_addc_u32 s63, s63, 0
	v_mul_lo_u32 v5, v3, s26
	v_mul_lo_u32 v7, v3, s27
	;; [unrolled: 1-line block ×6, first 2 shown]
	s_cmp_lg_u32 s4, s67
	v_add3_u32 v0, v5, v0, v9
	v_add3_u32 v4, v3, v2, v4
	;; [unrolled: 1-line block ×3, first 2 shown]
	s_cbranch_scc1 .LBB6_8
; %bb.9:
	v_mov_b32_e32 v1, v4
	s_and_b32 s14, s31, 3
	s_cmp_eq_u32 s14, 0
	s_cbranch_scc0 .LBB6_11
	s_branch .LBB6_13
.LBB6_10:
	v_mov_b32_e32 v2, 0
	s_mov_b32 s4, 0
	v_mov_b32_e32 v1, v2
                                        ; implicit-def: $vgpr4
	v_mov_b32_e32 v6, v8
	v_mov_b32_e32 v0, v2
	s_and_b32 s14, s31, 3
	s_cmp_eq_u32 s14, 0
	s_cbranch_scc1 .LBB6_13
.LBB6_11:
	s_mul_i32 s4, s4, 12
	s_add_u32 s4, s11, s4
	s_addc_u32 s13, s33, 0
	s_add_u32 s12, s4, 4
	s_addc_u32 s13, s13, 0
.LBB6_12:                               ; =>This Inner Loop Header: Depth=1
	s_load_dwordx2 s[16:17], s[12:13], 0x0
	s_load_dword s4, s[12:13], 0x8
	s_load_dwordx2 s[18:19], s[12:13], 0xc0
	s_load_dword s15, s[12:13], 0xc8
	v_mov_b32_e32 v4, v1
	s_waitcnt lgkmcnt(0)
	v_mul_hi_u32 v1, s17, v6
	v_add_u32_e32 v1, v6, v1
	v_lshrrev_b32_e32 v1, s4, v1
	v_mul_lo_u32 v3, v1, s16
	s_add_u32 s12, s12, 12
	v_sub_u32_e32 v3, v6, v3
	s_addc_u32 s13, s13, 0
	s_add_i32 s14, s14, -1
	v_mov_b32_e32 v6, v1
	v_mad_u64_u32 v[0:1], s[16:17], v3, s18, v[0:1]
	v_mad_u64_u32 v[4:5], s[16:17], v3, s15, v[4:5]
	s_cmp_lg_u32 s14, 0
	v_mad_u64_u32 v[2:3], s[16:17], v3, s19, v[2:3]
	v_mov_b32_e32 v1, v4
	s_cbranch_scc1 .LBB6_12
.LBB6_13:
	s_mov_b64 s[12:13], 0
.LBB6_14:
	s_andn2_b64 vcc, exec, s[12:13]
	s_cbranch_vccnz .LBB6_17
; %bb.15:
	v_mul_hi_u32 v0, s6, v8
	v_add_u32_e32 v0, v8, v0
	v_lshrrev_b32_e32 v1, s7, v0
	v_mul_lo_u32 v0, v1, s5
	v_sub_u32_e32 v2, v8, v0
	v_mul_lo_u32 v0, v2, s40
	v_mul_lo_u32 v4, v2, s42
	s_andn2_b64 vcc, exec, s[56:57]
	v_mul_lo_u32 v2, v2, s41
	s_cbranch_vccnz .LBB6_17
; %bb.16:
	v_mul_hi_u32 v3, s9, v1
	v_add_u32_e32 v3, v1, v3
	v_lshrrev_b32_e32 v3, s10, v3
	v_mul_lo_u32 v3, v3, s8
	v_sub_u32_e32 v5, v1, v3
	v_mad_u64_u32 v[0:1], s[12:13], v5, s43, v[0:1]
	v_mad_u64_u32 v[2:3], s[12:13], v5, s54, v[2:3]
	;; [unrolled: 1-line block ×3, first 2 shown]
.LBB6_17:
	s_andn2_b64 vcc, exec, s[52:53]
	s_cbranch_vccnz .LBB6_20
; %bb.18:
	s_waitcnt lgkmcnt(0)
	global_load_dword v9, v0, s[36:37]
	v_mov_b32_e32 v1, 0
	v_mov_b32_e32 v3, v1
	;; [unrolled: 1-line block ×3, first 2 shown]
	s_ashr_i32 s31, s30, 31
	s_ashr_i32 s15, s29, 31
	s_mov_b32 s14, s29
	v_lshl_add_u64 v[6:7], s[36:37], 0, v[0:1]
	v_lshl_add_u64 v[2:3], s[38:39], 0, v[2:3]
	;; [unrolled: 1-line block ×3, first 2 shown]
	s_lshl_b64 s[12:13], s[30:31], 2
	s_lshl_b64 s[14:15], s[14:15], 2
	s_mov_b32 s4, s28
.LBB6_19:                               ; =>This Inner Loop Header: Depth=1
	global_load_dword v4, v[2:3], off
	global_load_dword v5, v[0:1], off
	s_add_i32 s4, s4, -1
	v_lshl_add_u64 v[0:1], v[0:1], 0, s[12:13]
	v_lshl_add_u64 v[2:3], v[2:3], 0, s[14:15]
	s_cmp_lg_u32 s4, 0
	s_waitcnt vmcnt(0)
	v_fmac_f32_e32 v9, v4, v5
	global_store_dword v[6:7], v9, off
	s_cbranch_scc1 .LBB6_19
.LBB6_20:
	v_add_u32_e32 v8, 0x100, v8
	s_or_b64 exec, exec, s[60:61]
	v_cmp_gt_i32_e32 vcc, s66, v8
	s_and_saveexec_b64 s[60:61], vcc
	s_cbranch_execz .LBB6_2
.LBB6_21:
	s_and_b64 vcc, exec, s[0:1]
	s_cbranch_vccnz .LBB6_27
; %bb.22:
	v_mov_b32_e32 v4, 0
	s_andn2_b64 vcc, exec, s[2:3]
	v_mov_b32_e32 v2, 0
	v_mov_b32_e32 v0, 0
	s_cbranch_vccnz .LBB6_31
; %bb.23:
	s_add_i32 s31, s65, 1
	s_cmp_eq_u32 s64, 2
	s_cbranch_scc1 .LBB6_28
; %bb.24:
	s_and_b32 s4, s31, 28
	v_mov_b32_e32 v0, 0
	s_mov_b32 s67, 0
	s_mov_b64 s[62:63], s[58:59]
	v_mov_b32_e32 v6, v8
	v_mov_b32_e32 v2, 0
	v_mov_b32_e32 v4, 0
.LBB6_25:                               ; =>This Inner Loop Header: Depth=1
	s_load_dwordx8 s[12:19], s[62:63], 0x0
	s_load_dwordx4 s[44:47], s[62:63], 0x20
	s_load_dwordx4 s[48:51], s[62:63], 0xe0
	s_load_dwordx8 s[20:27], s[62:63], 0xc0
	s_add_i32 s67, s67, 4
	s_waitcnt lgkmcnt(0)
	v_mul_hi_u32 v1, s13, v6
	v_add_u32_e32 v1, v6, v1
	v_lshrrev_b32_e32 v1, s14, v1
	v_mul_hi_u32 v5, s16, v1
	v_add_u32_e32 v5, v1, v5
	v_lshrrev_b32_e32 v5, s17, v5
	v_mul_lo_u32 v3, v1, s12
	v_mul_lo_u32 v9, v5, s15
	v_mul_hi_u32 v10, s19, v5
	v_sub_u32_e32 v3, v6, v3
	v_sub_u32_e32 v1, v1, v9
	v_add_u32_e32 v9, v5, v10
	v_mul_lo_u32 v6, v3, s20
	v_mul_lo_u32 v7, v3, s22
	;; [unrolled: 1-line block ×6, first 2 shown]
	v_lshrrev_b32_e32 v9, s44, v9
	v_add3_u32 v1, v3, v2, v1
	v_add3_u32 v2, v7, v4, v11
	v_mul_hi_u32 v4, s46, v9
	v_add_u32_e32 v4, v9, v4
	v_add3_u32 v0, v6, v0, v10
	v_lshrrev_b32_e32 v6, s47, v4
	v_mul_lo_u32 v3, v9, s18
	v_mul_lo_u32 v4, v6, s45
	s_add_u32 s62, s62, 48
	v_sub_u32_e32 v3, v5, v3
	v_sub_u32_e32 v4, v9, v4
	s_addc_u32 s63, s63, 0
	v_mul_lo_u32 v5, v3, s26
	v_mul_lo_u32 v7, v3, s27
	;; [unrolled: 1-line block ×6, first 2 shown]
	s_cmp_eq_u32 s4, s67
	v_add3_u32 v0, v5, v0, v9
	v_add3_u32 v4, v3, v2, v4
	;; [unrolled: 1-line block ×3, first 2 shown]
	s_cbranch_scc0 .LBB6_25
; %bb.26:
	v_mov_b32_e32 v1, v4
	s_and_b32 s14, s31, 3
	s_cmp_eq_u32 s14, 0
	s_cbranch_scc0 .LBB6_29
	s_branch .LBB6_31
.LBB6_27:
                                        ; implicit-def: $vgpr4
                                        ; implicit-def: $vgpr2
                                        ; implicit-def: $vgpr0
	s_branch .LBB6_32
.LBB6_28:
	v_mov_b32_e32 v2, 0
	s_mov_b32 s4, 0
	v_mov_b32_e32 v1, v2
                                        ; implicit-def: $vgpr4
	v_mov_b32_e32 v6, v8
	v_mov_b32_e32 v0, v2
	s_and_b32 s14, s31, 3
	s_cmp_eq_u32 s14, 0
	s_cbranch_scc1 .LBB6_31
.LBB6_29:
	s_mul_i32 s4, s4, 12
	s_add_u32 s4, s11, s4
	s_addc_u32 s13, s33, 0
	s_add_u32 s12, s4, 4
	s_addc_u32 s13, s13, 0
.LBB6_30:                               ; =>This Inner Loop Header: Depth=1
	s_load_dwordx2 s[16:17], s[12:13], 0x0
	s_load_dword s4, s[12:13], 0x8
	s_load_dwordx2 s[18:19], s[12:13], 0xc0
	s_load_dword s15, s[12:13], 0xc8
	v_mov_b32_e32 v4, v1
	s_waitcnt lgkmcnt(0)
	v_mul_hi_u32 v1, s17, v6
	v_add_u32_e32 v1, v6, v1
	v_lshrrev_b32_e32 v1, s4, v1
	v_mul_lo_u32 v3, v1, s16
	s_add_u32 s12, s12, 12
	v_sub_u32_e32 v3, v6, v3
	s_addc_u32 s13, s13, 0
	s_add_i32 s14, s14, -1
	v_mov_b32_e32 v6, v1
	v_mad_u64_u32 v[0:1], s[16:17], v3, s18, v[0:1]
	v_mad_u64_u32 v[4:5], s[16:17], v3, s15, v[4:5]
	s_cmp_lg_u32 s14, 0
	v_mad_u64_u32 v[2:3], s[16:17], v3, s19, v[2:3]
	v_mov_b32_e32 v1, v4
	s_cbranch_scc1 .LBB6_30
.LBB6_31:
	s_cbranch_execnz .LBB6_34
.LBB6_32:
	v_mul_hi_u32 v0, s6, v8
	v_add_u32_e32 v0, v8, v0
	v_lshrrev_b32_e32 v1, s7, v0
	v_mul_lo_u32 v0, v1, s5
	v_sub_u32_e32 v2, v8, v0
	v_mul_lo_u32 v0, v2, s40
	v_mul_lo_u32 v4, v2, s42
	s_andn2_b64 vcc, exec, s[56:57]
	v_mul_lo_u32 v2, v2, s41
	s_cbranch_vccnz .LBB6_34
; %bb.33:
	v_mul_hi_u32 v3, s9, v1
	v_add_u32_e32 v3, v1, v3
	v_lshrrev_b32_e32 v3, s10, v3
	v_mul_lo_u32 v3, v3, s8
	v_sub_u32_e32 v5, v1, v3
	v_mad_u64_u32 v[0:1], s[12:13], v5, s43, v[0:1]
	v_mad_u64_u32 v[2:3], s[12:13], v5, s54, v[2:3]
	;; [unrolled: 1-line block ×3, first 2 shown]
.LBB6_34:
	s_andn2_b64 vcc, exec, s[52:53]
	s_cbranch_vccnz .LBB6_37
; %bb.35:
	s_waitcnt lgkmcnt(0)
	global_load_dword v9, v0, s[36:37]
	v_mov_b32_e32 v1, 0
	v_mov_b32_e32 v3, v1
	;; [unrolled: 1-line block ×3, first 2 shown]
	s_ashr_i32 s31, s30, 31
	s_ashr_i32 s15, s29, 31
	s_mov_b32 s14, s29
	v_lshl_add_u64 v[6:7], s[36:37], 0, v[0:1]
	v_lshl_add_u64 v[2:3], s[38:39], 0, v[2:3]
	;; [unrolled: 1-line block ×3, first 2 shown]
	s_lshl_b64 s[12:13], s[30:31], 2
	s_lshl_b64 s[14:15], s[14:15], 2
	s_mov_b32 s4, s28
.LBB6_36:                               ; =>This Inner Loop Header: Depth=1
	global_load_dword v4, v[2:3], off
	global_load_dword v5, v[0:1], off
	s_add_i32 s4, s4, -1
	v_lshl_add_u64 v[0:1], v[0:1], 0, s[12:13]
	v_lshl_add_u64 v[2:3], v[2:3], 0, s[14:15]
	s_cmp_lg_u32 s4, 0
	s_waitcnt vmcnt(0)
	v_fmac_f32_e32 v9, v4, v5
	global_store_dword v[6:7], v9, off
	s_cbranch_scc1 .LBB6_36
.LBB6_37:
	v_add_u32_e32 v8, 0x100, v8
	s_or_b64 exec, exec, s[60:61]
	v_cmp_gt_i32_e32 vcc, s66, v8
	s_and_saveexec_b64 s[60:61], vcc
	s_cbranch_execz .LBB6_3
.LBB6_38:
	s_and_b64 vcc, exec, s[0:1]
	s_cbranch_vccnz .LBB6_44
; %bb.39:
	v_mov_b32_e32 v4, 0
	s_andn2_b64 vcc, exec, s[2:3]
	v_mov_b32_e32 v2, 0
	v_mov_b32_e32 v0, 0
	s_cbranch_vccnz .LBB6_48
; %bb.40:
	s_add_i32 s31, s65, 1
	s_cmp_eq_u32 s64, 2
	s_cbranch_scc1 .LBB6_45
; %bb.41:
	s_and_b32 s4, s31, 28
	v_mov_b32_e32 v0, 0
	s_mov_b32 s67, 0
	s_mov_b64 s[62:63], s[58:59]
	v_mov_b32_e32 v6, v8
	v_mov_b32_e32 v2, 0
	;; [unrolled: 1-line block ×3, first 2 shown]
.LBB6_42:                               ; =>This Inner Loop Header: Depth=1
	s_load_dwordx8 s[12:19], s[62:63], 0x0
	s_load_dwordx4 s[44:47], s[62:63], 0x20
	s_load_dwordx4 s[48:51], s[62:63], 0xe0
	s_load_dwordx8 s[20:27], s[62:63], 0xc0
	s_add_i32 s67, s67, 4
	s_waitcnt lgkmcnt(0)
	v_mul_hi_u32 v1, s13, v6
	v_add_u32_e32 v1, v6, v1
	v_lshrrev_b32_e32 v1, s14, v1
	v_mul_hi_u32 v5, s16, v1
	v_add_u32_e32 v5, v1, v5
	v_lshrrev_b32_e32 v5, s17, v5
	v_mul_lo_u32 v3, v1, s12
	v_mul_lo_u32 v9, v5, s15
	v_mul_hi_u32 v10, s19, v5
	v_sub_u32_e32 v3, v6, v3
	v_sub_u32_e32 v1, v1, v9
	v_add_u32_e32 v9, v5, v10
	v_mul_lo_u32 v6, v3, s20
	v_mul_lo_u32 v7, v3, s22
	;; [unrolled: 1-line block ×6, first 2 shown]
	v_lshrrev_b32_e32 v9, s44, v9
	v_add3_u32 v1, v3, v2, v1
	v_add3_u32 v2, v7, v4, v11
	v_mul_hi_u32 v4, s46, v9
	v_add_u32_e32 v4, v9, v4
	v_add3_u32 v0, v6, v0, v10
	v_lshrrev_b32_e32 v6, s47, v4
	v_mul_lo_u32 v3, v9, s18
	v_mul_lo_u32 v4, v6, s45
	s_add_u32 s62, s62, 48
	v_sub_u32_e32 v3, v5, v3
	v_sub_u32_e32 v4, v9, v4
	s_addc_u32 s63, s63, 0
	v_mul_lo_u32 v5, v3, s26
	v_mul_lo_u32 v7, v3, s27
	;; [unrolled: 1-line block ×6, first 2 shown]
	s_cmp_eq_u32 s4, s67
	v_add3_u32 v0, v5, v0, v9
	v_add3_u32 v4, v3, v2, v4
	v_add3_u32 v2, v7, v1, v10
	s_cbranch_scc0 .LBB6_42
; %bb.43:
	v_mov_b32_e32 v1, v4
	s_and_b32 s14, s31, 3
	s_cmp_eq_u32 s14, 0
	s_cbranch_scc0 .LBB6_46
	s_branch .LBB6_48
.LBB6_44:
                                        ; implicit-def: $vgpr4
                                        ; implicit-def: $vgpr2
                                        ; implicit-def: $vgpr0
	s_branch .LBB6_49
.LBB6_45:
	v_mov_b32_e32 v2, 0
	s_mov_b32 s4, 0
	v_mov_b32_e32 v1, v2
                                        ; implicit-def: $vgpr4
	v_mov_b32_e32 v6, v8
	v_mov_b32_e32 v0, v2
	s_and_b32 s14, s31, 3
	s_cmp_eq_u32 s14, 0
	s_cbranch_scc1 .LBB6_48
.LBB6_46:
	s_mul_i32 s4, s4, 12
	s_add_u32 s4, s11, s4
	s_addc_u32 s13, s33, 0
	s_add_u32 s12, s4, 4
	s_addc_u32 s13, s13, 0
.LBB6_47:                               ; =>This Inner Loop Header: Depth=1
	s_load_dwordx2 s[16:17], s[12:13], 0x0
	s_load_dword s4, s[12:13], 0x8
	s_load_dwordx2 s[18:19], s[12:13], 0xc0
	s_load_dword s15, s[12:13], 0xc8
	v_mov_b32_e32 v4, v1
	s_waitcnt lgkmcnt(0)
	v_mul_hi_u32 v1, s17, v6
	v_add_u32_e32 v1, v6, v1
	v_lshrrev_b32_e32 v1, s4, v1
	v_mul_lo_u32 v3, v1, s16
	s_add_u32 s12, s12, 12
	v_sub_u32_e32 v3, v6, v3
	s_addc_u32 s13, s13, 0
	s_add_i32 s14, s14, -1
	v_mov_b32_e32 v6, v1
	v_mad_u64_u32 v[0:1], s[16:17], v3, s18, v[0:1]
	v_mad_u64_u32 v[4:5], s[16:17], v3, s15, v[4:5]
	s_cmp_lg_u32 s14, 0
	v_mad_u64_u32 v[2:3], s[16:17], v3, s19, v[2:3]
	v_mov_b32_e32 v1, v4
	s_cbranch_scc1 .LBB6_47
.LBB6_48:
	s_cbranch_execnz .LBB6_51
.LBB6_49:
	v_mul_hi_u32 v0, s6, v8
	v_add_u32_e32 v0, v8, v0
	v_lshrrev_b32_e32 v1, s7, v0
	v_mul_lo_u32 v0, v1, s5
	v_sub_u32_e32 v2, v8, v0
	v_mul_lo_u32 v0, v2, s40
	v_mul_lo_u32 v4, v2, s42
	s_andn2_b64 vcc, exec, s[56:57]
	v_mul_lo_u32 v2, v2, s41
	s_cbranch_vccnz .LBB6_51
; %bb.50:
	v_mul_hi_u32 v3, s9, v1
	v_add_u32_e32 v3, v1, v3
	v_lshrrev_b32_e32 v3, s10, v3
	v_mul_lo_u32 v3, v3, s8
	v_sub_u32_e32 v5, v1, v3
	v_mad_u64_u32 v[0:1], s[12:13], v5, s43, v[0:1]
	v_mad_u64_u32 v[2:3], s[12:13], v5, s54, v[2:3]
	;; [unrolled: 1-line block ×3, first 2 shown]
.LBB6_51:
	s_andn2_b64 vcc, exec, s[52:53]
	s_cbranch_vccnz .LBB6_54
; %bb.52:
	s_waitcnt lgkmcnt(0)
	global_load_dword v9, v0, s[36:37]
	v_mov_b32_e32 v1, 0
	v_mov_b32_e32 v3, v1
	;; [unrolled: 1-line block ×3, first 2 shown]
	s_ashr_i32 s31, s30, 31
	s_ashr_i32 s15, s29, 31
	s_mov_b32 s14, s29
	v_lshl_add_u64 v[6:7], s[36:37], 0, v[0:1]
	v_lshl_add_u64 v[2:3], s[38:39], 0, v[2:3]
	;; [unrolled: 1-line block ×3, first 2 shown]
	s_lshl_b64 s[12:13], s[30:31], 2
	s_lshl_b64 s[14:15], s[14:15], 2
	s_mov_b32 s4, s28
.LBB6_53:                               ; =>This Inner Loop Header: Depth=1
	global_load_dword v4, v[2:3], off
	global_load_dword v5, v[0:1], off
	s_add_i32 s4, s4, -1
	v_lshl_add_u64 v[0:1], v[0:1], 0, s[12:13]
	v_lshl_add_u64 v[2:3], v[2:3], 0, s[14:15]
	s_cmp_lg_u32 s4, 0
	s_waitcnt vmcnt(0)
	v_fmac_f32_e32 v9, v4, v5
	global_store_dword v[6:7], v9, off
	s_cbranch_scc1 .LBB6_53
.LBB6_54:
	v_add_u32_e32 v8, 0x100, v8
	s_or_b64 exec, exec, s[60:61]
	v_cmp_gt_i32_e32 vcc, s66, v8
	s_and_saveexec_b64 s[12:13], vcc
	s_cbranch_execz .LBB6_71
.LBB6_55:
	s_and_b64 vcc, exec, s[0:1]
	s_cbranch_vccnz .LBB6_61
; %bb.56:
	v_mov_b32_e32 v4, 0
	s_andn2_b64 vcc, exec, s[2:3]
	v_mov_b32_e32 v2, 0
	v_mov_b32_e32 v0, 0
	s_cbranch_vccnz .LBB6_65
; %bb.57:
	s_add_i32 s65, s65, 1
	s_cmp_eq_u32 s64, 2
	s_cbranch_scc1 .LBB6_62
; %bb.58:
	s_and_b32 s4, s65, 28
	v_mov_b32_e32 v0, 0
	s_mov_b32 s31, 0
	v_mov_b32_e32 v6, v8
	v_mov_b32_e32 v2, 0
	v_mov_b32_e32 v4, 0
.LBB6_59:                               ; =>This Inner Loop Header: Depth=1
	s_load_dwordx8 s[12:19], s[58:59], 0x0
	s_load_dwordx4 s[0:3], s[58:59], 0x20
	s_load_dwordx4 s[44:47], s[58:59], 0xe0
	s_load_dwordx8 s[20:27], s[58:59], 0xc0
	s_add_i32 s31, s31, 4
	s_waitcnt lgkmcnt(0)
	v_mul_hi_u32 v1, s13, v6
	v_add_u32_e32 v1, v6, v1
	v_lshrrev_b32_e32 v1, s14, v1
	v_mul_hi_u32 v5, s16, v1
	v_add_u32_e32 v5, v1, v5
	v_lshrrev_b32_e32 v5, s17, v5
	v_mul_lo_u32 v3, v1, s12
	v_mul_lo_u32 v9, v5, s15
	v_mul_hi_u32 v10, s19, v5
	v_sub_u32_e32 v3, v6, v3
	v_sub_u32_e32 v1, v1, v9
	v_add_u32_e32 v9, v5, v10
	v_mul_lo_u32 v6, v3, s20
	v_mul_lo_u32 v7, v3, s22
	;; [unrolled: 1-line block ×6, first 2 shown]
	v_lshrrev_b32_e32 v9, s0, v9
	v_add3_u32 v1, v3, v2, v1
	v_add3_u32 v2, v7, v4, v11
	v_mul_hi_u32 v4, s2, v9
	v_add_u32_e32 v4, v9, v4
	v_add3_u32 v0, v6, v0, v10
	v_lshrrev_b32_e32 v6, s3, v4
	v_mul_lo_u32 v3, v9, s18
	v_mul_lo_u32 v4, v6, s1
	s_add_u32 s58, s58, 48
	v_sub_u32_e32 v3, v5, v3
	v_sub_u32_e32 v4, v9, v4
	s_addc_u32 s59, s59, 0
	v_mul_lo_u32 v5, v3, s26
	v_mul_lo_u32 v7, v3, s27
	;; [unrolled: 1-line block ×6, first 2 shown]
	s_cmp_eq_u32 s4, s31
	v_add3_u32 v0, v5, v0, v9
	v_add3_u32 v4, v3, v2, v4
	;; [unrolled: 1-line block ×3, first 2 shown]
	s_cbranch_scc0 .LBB6_59
; %bb.60:
	v_mov_b32_e32 v1, v4
	s_and_b32 s2, s65, 3
	s_cmp_eq_u32 s2, 0
	s_cbranch_scc0 .LBB6_63
	s_branch .LBB6_65
.LBB6_61:
                                        ; implicit-def: $vgpr4
                                        ; implicit-def: $vgpr2
                                        ; implicit-def: $vgpr0
	s_branch .LBB6_66
.LBB6_62:
	v_mov_b32_e32 v2, 0
	s_mov_b32 s4, 0
	v_mov_b32_e32 v1, v2
                                        ; implicit-def: $vgpr4
	v_mov_b32_e32 v6, v8
	v_mov_b32_e32 v0, v2
	s_and_b32 s2, s65, 3
	s_cmp_eq_u32 s2, 0
	s_cbranch_scc1 .LBB6_65
.LBB6_63:
	s_mul_i32 s0, s4, 12
	s_add_u32 s0, s11, s0
	s_addc_u32 s1, s33, 0
	s_add_u32 s0, s0, 4
	s_addc_u32 s1, s1, 0
.LBB6_64:                               ; =>This Inner Loop Header: Depth=1
	s_load_dwordx2 s[12:13], s[0:1], 0x0
	s_load_dword s3, s[0:1], 0x8
	s_load_dwordx2 s[14:15], s[0:1], 0xc0
	s_load_dword s4, s[0:1], 0xc8
	v_mov_b32_e32 v4, v1
	s_waitcnt lgkmcnt(0)
	v_mul_hi_u32 v1, s13, v6
	v_add_u32_e32 v1, v6, v1
	v_lshrrev_b32_e32 v1, s3, v1
	v_mul_lo_u32 v3, v1, s12
	s_add_u32 s0, s0, 12
	v_sub_u32_e32 v3, v6, v3
	s_addc_u32 s1, s1, 0
	s_add_i32 s2, s2, -1
	v_mov_b32_e32 v6, v1
	v_mad_u64_u32 v[0:1], s[12:13], v3, s14, v[0:1]
	v_mad_u64_u32 v[4:5], s[12:13], v3, s4, v[4:5]
	s_cmp_lg_u32 s2, 0
	v_mad_u64_u32 v[2:3], s[12:13], v3, s15, v[2:3]
	v_mov_b32_e32 v1, v4
	s_cbranch_scc1 .LBB6_64
.LBB6_65:
	s_cbranch_execnz .LBB6_68
.LBB6_66:
	v_mul_hi_u32 v0, s6, v8
	v_add_u32_e32 v0, v8, v0
	v_lshrrev_b32_e32 v1, s7, v0
	v_mul_lo_u32 v0, v1, s5
	v_sub_u32_e32 v2, v8, v0
	v_mul_lo_u32 v0, v2, s40
	v_mul_lo_u32 v4, v2, s42
	s_andn2_b64 vcc, exec, s[56:57]
	v_mul_lo_u32 v2, v2, s41
	s_cbranch_vccnz .LBB6_68
; %bb.67:
	v_mul_hi_u32 v3, s9, v1
	v_add_u32_e32 v3, v1, v3
	v_lshrrev_b32_e32 v3, s10, v3
	v_mul_lo_u32 v3, v3, s8
	v_sub_u32_e32 v5, v1, v3
	v_mad_u64_u32 v[0:1], s[0:1], v5, s43, v[0:1]
	v_mad_u64_u32 v[2:3], s[0:1], v5, s54, v[2:3]
	;; [unrolled: 1-line block ×3, first 2 shown]
.LBB6_68:
	s_andn2_b64 vcc, exec, s[52:53]
	s_cbranch_vccnz .LBB6_71
; %bb.69:
	s_waitcnt lgkmcnt(0)
	global_load_dword v8, v0, s[36:37]
	v_mov_b32_e32 v1, 0
	v_mov_b32_e32 v3, v1
	;; [unrolled: 1-line block ×3, first 2 shown]
	s_ashr_i32 s31, s30, 31
	s_ashr_i32 s3, s29, 31
	s_mov_b32 s2, s29
	v_lshl_add_u64 v[6:7], s[36:37], 0, v[0:1]
	v_lshl_add_u64 v[2:3], s[38:39], 0, v[2:3]
	;; [unrolled: 1-line block ×3, first 2 shown]
	s_lshl_b64 s[0:1], s[30:31], 2
	s_lshl_b64 s[2:3], s[2:3], 2
.LBB6_70:                               ; =>This Inner Loop Header: Depth=1
	global_load_dword v4, v[2:3], off
	global_load_dword v5, v[0:1], off
	s_add_i32 s28, s28, -1
	v_lshl_add_u64 v[0:1], v[0:1], 0, s[0:1]
	v_lshl_add_u64 v[2:3], v[2:3], 0, s[2:3]
	s_cmp_lg_u32 s28, 0
	s_waitcnt vmcnt(0)
	v_fmac_f32_e32 v8, v4, v5
	global_store_dword v[6:7], v8, off
	s_cbranch_scc1 .LBB6_70
.LBB6_71:
	s_endpgm
	.section	.rodata,"a",@progbits
	.p2align	6, 0x0
	.amdhsa_kernel _ZN2at6native12_GLOBAL__N_116_elemwise_kernelILi256ELi4EZNS1_43_compute_linear_combination_internal_kernelIfEEvRNS_14TensorIteratorEiiiEUliE_EEviT1_
		.amdhsa_group_segment_fixed_size 0
		.amdhsa_private_segment_fixed_size 0
		.amdhsa_kernarg_size 440
		.amdhsa_user_sgpr_count 2
		.amdhsa_user_sgpr_dispatch_ptr 0
		.amdhsa_user_sgpr_queue_ptr 0
		.amdhsa_user_sgpr_kernarg_segment_ptr 1
		.amdhsa_user_sgpr_dispatch_id 0
		.amdhsa_user_sgpr_kernarg_preload_length 0
		.amdhsa_user_sgpr_kernarg_preload_offset 0
		.amdhsa_user_sgpr_private_segment_size 0
		.amdhsa_uses_dynamic_stack 0
		.amdhsa_enable_private_segment 0
		.amdhsa_system_sgpr_workgroup_id_x 1
		.amdhsa_system_sgpr_workgroup_id_y 0
		.amdhsa_system_sgpr_workgroup_id_z 0
		.amdhsa_system_sgpr_workgroup_info 0
		.amdhsa_system_vgpr_workitem_id 0
		.amdhsa_next_free_vgpr 12
		.amdhsa_next_free_sgpr 68
		.amdhsa_accum_offset 12
		.amdhsa_reserve_vcc 1
		.amdhsa_float_round_mode_32 0
		.amdhsa_float_round_mode_16_64 0
		.amdhsa_float_denorm_mode_32 3
		.amdhsa_float_denorm_mode_16_64 3
		.amdhsa_dx10_clamp 1
		.amdhsa_ieee_mode 1
		.amdhsa_fp16_overflow 0
		.amdhsa_tg_split 0
		.amdhsa_exception_fp_ieee_invalid_op 0
		.amdhsa_exception_fp_denorm_src 0
		.amdhsa_exception_fp_ieee_div_zero 0
		.amdhsa_exception_fp_ieee_overflow 0
		.amdhsa_exception_fp_ieee_underflow 0
		.amdhsa_exception_fp_ieee_inexact 0
		.amdhsa_exception_int_div_zero 0
	.end_amdhsa_kernel
	.section	.text._ZN2at6native12_GLOBAL__N_116_elemwise_kernelILi256ELi4EZNS1_43_compute_linear_combination_internal_kernelIfEEvRNS_14TensorIteratorEiiiEUliE_EEviT1_,"axG",@progbits,_ZN2at6native12_GLOBAL__N_116_elemwise_kernelILi256ELi4EZNS1_43_compute_linear_combination_internal_kernelIfEEvRNS_14TensorIteratorEiiiEUliE_EEviT1_,comdat
.Lfunc_end6:
	.size	_ZN2at6native12_GLOBAL__N_116_elemwise_kernelILi256ELi4EZNS1_43_compute_linear_combination_internal_kernelIfEEvRNS_14TensorIteratorEiiiEUliE_EEviT1_, .Lfunc_end6-_ZN2at6native12_GLOBAL__N_116_elemwise_kernelILi256ELi4EZNS1_43_compute_linear_combination_internal_kernelIfEEvRNS_14TensorIteratorEiiiEUliE_EEviT1_
                                        ; -- End function
	.set _ZN2at6native12_GLOBAL__N_116_elemwise_kernelILi256ELi4EZNS1_43_compute_linear_combination_internal_kernelIfEEvRNS_14TensorIteratorEiiiEUliE_EEviT1_.num_vgpr, 12
	.set _ZN2at6native12_GLOBAL__N_116_elemwise_kernelILi256ELi4EZNS1_43_compute_linear_combination_internal_kernelIfEEvRNS_14TensorIteratorEiiiEUliE_EEviT1_.num_agpr, 0
	.set _ZN2at6native12_GLOBAL__N_116_elemwise_kernelILi256ELi4EZNS1_43_compute_linear_combination_internal_kernelIfEEvRNS_14TensorIteratorEiiiEUliE_EEviT1_.numbered_sgpr, 68
	.set _ZN2at6native12_GLOBAL__N_116_elemwise_kernelILi256ELi4EZNS1_43_compute_linear_combination_internal_kernelIfEEvRNS_14TensorIteratorEiiiEUliE_EEviT1_.num_named_barrier, 0
	.set _ZN2at6native12_GLOBAL__N_116_elemwise_kernelILi256ELi4EZNS1_43_compute_linear_combination_internal_kernelIfEEvRNS_14TensorIteratorEiiiEUliE_EEviT1_.private_seg_size, 0
	.set _ZN2at6native12_GLOBAL__N_116_elemwise_kernelILi256ELi4EZNS1_43_compute_linear_combination_internal_kernelIfEEvRNS_14TensorIteratorEiiiEUliE_EEviT1_.uses_vcc, 1
	.set _ZN2at6native12_GLOBAL__N_116_elemwise_kernelILi256ELi4EZNS1_43_compute_linear_combination_internal_kernelIfEEvRNS_14TensorIteratorEiiiEUliE_EEviT1_.uses_flat_scratch, 0
	.set _ZN2at6native12_GLOBAL__N_116_elemwise_kernelILi256ELi4EZNS1_43_compute_linear_combination_internal_kernelIfEEvRNS_14TensorIteratorEiiiEUliE_EEviT1_.has_dyn_sized_stack, 0
	.set _ZN2at6native12_GLOBAL__N_116_elemwise_kernelILi256ELi4EZNS1_43_compute_linear_combination_internal_kernelIfEEvRNS_14TensorIteratorEiiiEUliE_EEviT1_.has_recursion, 0
	.set _ZN2at6native12_GLOBAL__N_116_elemwise_kernelILi256ELi4EZNS1_43_compute_linear_combination_internal_kernelIfEEvRNS_14TensorIteratorEiiiEUliE_EEviT1_.has_indirect_call, 0
	.section	.AMDGPU.csdata,"",@progbits
; Kernel info:
; codeLenInByte = 3616
; TotalNumSgprs: 74
; NumVgprs: 12
; NumAgprs: 0
; TotalNumVgprs: 12
; ScratchSize: 0
; MemoryBound: 0
; FloatMode: 240
; IeeeMode: 1
; LDSByteSize: 0 bytes/workgroup (compile time only)
; SGPRBlocks: 9
; VGPRBlocks: 1
; NumSGPRsForWavesPerEU: 74
; NumVGPRsForWavesPerEU: 12
; AccumOffset: 12
; Occupancy: 8
; WaveLimiterHint : 1
; COMPUTE_PGM_RSRC2:SCRATCH_EN: 0
; COMPUTE_PGM_RSRC2:USER_SGPR: 2
; COMPUTE_PGM_RSRC2:TRAP_HANDLER: 0
; COMPUTE_PGM_RSRC2:TGID_X_EN: 1
; COMPUTE_PGM_RSRC2:TGID_Y_EN: 0
; COMPUTE_PGM_RSRC2:TGID_Z_EN: 0
; COMPUTE_PGM_RSRC2:TIDIG_COMP_CNT: 0
; COMPUTE_PGM_RSRC3_GFX90A:ACCUM_OFFSET: 2
; COMPUTE_PGM_RSRC3_GFX90A:TG_SPLIT: 0
	.section	.text._ZN2at6native12_GLOBAL__N_116_elemwise_kernelILi256ELi4EZNS1_43_compute_linear_combination_internal_kernelIN3c107complexIdEEEEvRNS_14TensorIteratorEiiiEUliE_EEviT1_,"axG",@progbits,_ZN2at6native12_GLOBAL__N_116_elemwise_kernelILi256ELi4EZNS1_43_compute_linear_combination_internal_kernelIN3c107complexIdEEEEvRNS_14TensorIteratorEiiiEUliE_EEviT1_,comdat
	.globl	_ZN2at6native12_GLOBAL__N_116_elemwise_kernelILi256ELi4EZNS1_43_compute_linear_combination_internal_kernelIN3c107complexIdEEEEvRNS_14TensorIteratorEiiiEUliE_EEviT1_ ; -- Begin function _ZN2at6native12_GLOBAL__N_116_elemwise_kernelILi256ELi4EZNS1_43_compute_linear_combination_internal_kernelIN3c107complexIdEEEEvRNS_14TensorIteratorEiiiEUliE_EEviT1_
	.p2align	8
	.type	_ZN2at6native12_GLOBAL__N_116_elemwise_kernelILi256ELi4EZNS1_43_compute_linear_combination_internal_kernelIN3c107complexIdEEEEvRNS_14TensorIteratorEiiiEUliE_EEviT1_,@function
_ZN2at6native12_GLOBAL__N_116_elemwise_kernelILi256ELi4EZNS1_43_compute_linear_combination_internal_kernelIN3c107complexIdEEEEvRNS_14TensorIteratorEiiiEUliE_EEviT1_: ; @_ZN2at6native12_GLOBAL__N_116_elemwise_kernelILi256ELi4EZNS1_43_compute_linear_combination_internal_kernelIN3c107complexIdEEEEvRNS_14TensorIteratorEiiiEUliE_EEviT1_
; %bb.0:
	s_load_dword s66, s[0:1], 0x0
	s_load_dwordx8 s[4:11], s[0:1], 0x8
	s_load_dwordx4 s[40:43], s[0:1], 0xcc
	s_load_dwordx2 s[54:55], s[0:1], 0xdc
	s_load_dwordx4 s[28:31], s[0:1], 0x1a8
	v_lshl_or_b32 v12, s2, 10, v0
	s_waitcnt lgkmcnt(0)
	s_add_u32 s11, s0, 8
	s_load_dwordx2 s[34:35], s[0:1], 0x1a0
	s_load_dwordx4 s[36:39], s[0:1], 0x190
	v_sub_co_u32_e64 v0, s[2:3], s4, 1
	s_nop 0
	v_readfirstlane_b32 s64, v0
	s_addc_u32 s33, s1, 0
	s_xor_b64 s[2:3], s[2:3], -1
	s_or_b32 s58, s0, 12
	s_min_u32 s65, s64, 15
	s_mov_b32 s59, s1
	s_cmp_gt_u32 s4, 1
	v_cmp_lt_u32_e64 s[0:1], 1, v0
	s_cselect_b64 s[56:57], -1, 0
	s_cmp_gt_i32 s28, 0
	v_cndmask_b32_e64 v0, 0, 1, s[0:1]
	s_mov_b64 s[12:13], -1
	s_cselect_b64 s[52:53], -1, 0
	v_cmp_gt_i32_e32 vcc, s66, v12
	v_cmp_ne_u32_e64 s[0:1], 1, v0
	s_and_saveexec_b64 s[60:61], vcc
	s_cbranch_execnz .LBB7_4
; %bb.1:
	s_or_b64 exec, exec, s[60:61]
	v_cmp_gt_i32_e32 vcc, s66, v12
	s_and_saveexec_b64 s[60:61], vcc
	s_cbranch_execnz .LBB7_21
.LBB7_2:
	s_or_b64 exec, exec, s[60:61]
	v_cmp_gt_i32_e32 vcc, s66, v12
	s_and_saveexec_b64 s[60:61], vcc
	s_cbranch_execnz .LBB7_38
.LBB7_3:
	s_or_b64 exec, exec, s[60:61]
	v_cmp_gt_i32_e32 vcc, s66, v12
	s_and_saveexec_b64 s[12:13], vcc
	s_cbranch_execnz .LBB7_55
	s_branch .LBB7_71
.LBB7_4:
	s_and_b64 vcc, exec, s[0:1]
                                        ; implicit-def: $vgpr8
                                        ; implicit-def: $vgpr4
                                        ; implicit-def: $vgpr6
	s_cbranch_vccnz .LBB7_14
; %bb.5:
	v_mov_b32_e32 v8, 0
	s_andn2_b64 vcc, exec, s[2:3]
	v_mov_b32_e32 v4, 0
	v_mov_b32_e32 v6, 0
	s_cbranch_vccnz .LBB7_13
; %bb.6:
	s_add_i32 s31, s65, 1
	s_cmp_eq_u32 s64, 2
	s_cbranch_scc1 .LBB7_10
; %bb.7:
	s_and_b32 s4, s31, 28
	v_mov_b32_e32 v6, 0
	s_mov_b32 s67, 0
	s_mov_b64 s[62:63], s[58:59]
	v_mov_b32_e32 v0, v12
	v_mov_b32_e32 v4, 0
	;; [unrolled: 1-line block ×3, first 2 shown]
.LBB7_8:                                ; =>This Inner Loop Header: Depth=1
	s_load_dwordx8 s[12:19], s[62:63], 0x0
	s_load_dwordx4 s[44:47], s[62:63], 0x20
	s_load_dwordx4 s[48:51], s[62:63], 0xe0
	s_load_dwordx8 s[20:27], s[62:63], 0xc0
	s_add_i32 s67, s67, 4
	s_waitcnt lgkmcnt(0)
	v_mul_hi_u32 v1, s13, v0
	v_add_u32_e32 v1, v0, v1
	v_lshrrev_b32_e32 v1, s14, v1
	v_mul_lo_u32 v2, v1, s12
	v_mul_hi_u32 v3, s16, v1
	v_sub_u32_e32 v0, v0, v2
	v_add_u32_e32 v2, v1, v3
	v_lshrrev_b32_e32 v2, s17, v2
	v_mul_lo_u32 v7, v2, s15
	v_mul_hi_u32 v9, s19, v2
	v_sub_u32_e32 v1, v1, v7
	v_add_u32_e32 v7, v2, v9
	v_mul_lo_u32 v3, v0, s20
	v_mul_lo_u32 v5, v0, s22
	;; [unrolled: 1-line block ×6, first 2 shown]
	v_lshrrev_b32_e32 v7, s44, v7
	v_add3_u32 v1, v0, v4, v1
	v_add3_u32 v4, v5, v8, v10
	v_mul_lo_u32 v0, v7, s18
	v_mul_hi_u32 v5, s46, v7
	v_sub_u32_e32 v0, v2, v0
	v_add_u32_e32 v2, v7, v5
	v_add3_u32 v3, v3, v6, v9
	v_mul_lo_u32 v5, v0, s26
	v_mul_lo_u32 v9, v0, s27
	;; [unrolled: 1-line block ×3, first 2 shown]
	v_lshrrev_b32_e32 v0, s47, v2
	v_mul_lo_u32 v2, v0, s45
	s_add_u32 s62, s62, 48
	v_sub_u32_e32 v2, v7, v2
	s_addc_u32 s63, s63, 0
	v_mul_lo_u32 v6, v2, s49
	v_mul_lo_u32 v7, v2, s50
	;; [unrolled: 1-line block ×3, first 2 shown]
	s_cmp_lg_u32 s4, s67
	v_add3_u32 v6, v5, v3, v6
	v_add3_u32 v8, v8, v4, v2
	;; [unrolled: 1-line block ×3, first 2 shown]
	s_cbranch_scc1 .LBB7_8
; %bb.9:
	v_mov_b32_e32 v1, v8
	s_and_b32 s14, s31, 3
	s_cmp_eq_u32 s14, 0
	s_cbranch_scc0 .LBB7_11
	s_branch .LBB7_13
.LBB7_10:
	v_mov_b32_e32 v4, 0
	s_mov_b32 s4, 0
	v_mov_b32_e32 v1, v4
                                        ; implicit-def: $vgpr8
	v_mov_b32_e32 v0, v12
	v_mov_b32_e32 v6, v4
	s_and_b32 s14, s31, 3
	s_cmp_eq_u32 s14, 0
	s_cbranch_scc1 .LBB7_13
.LBB7_11:
	s_mul_i32 s4, s4, 12
	s_add_u32 s4, s11, s4
	s_addc_u32 s13, s33, 0
	s_add_u32 s12, s4, 4
	s_addc_u32 s13, s13, 0
.LBB7_12:                               ; =>This Inner Loop Header: Depth=1
	s_load_dwordx2 s[16:17], s[12:13], 0x0
	s_load_dword s4, s[12:13], 0x8
	s_load_dwordx2 s[18:19], s[12:13], 0xc0
	s_load_dword s15, s[12:13], 0xc8
	v_mov_b32_e32 v2, v1
	s_waitcnt lgkmcnt(0)
	v_mul_hi_u32 v1, s17, v0
	v_add_u32_e32 v1, v0, v1
	v_lshrrev_b32_e32 v1, s4, v1
	v_mul_lo_u32 v3, v1, s16
	s_add_u32 s12, s12, 12
	v_sub_u32_e32 v3, v0, v3
	s_addc_u32 s13, s13, 0
	s_add_i32 s14, s14, -1
	v_mad_u64_u32 v[8:9], s[16:17], v3, s15, v[2:3]
	s_cmp_lg_u32 s14, 0
	v_mov_b32_e32 v0, v1
	v_mad_u64_u32 v[6:7], s[16:17], v3, s18, v[6:7]
	v_mad_u64_u32 v[4:5], s[16:17], v3, s19, v[4:5]
	v_mov_b32_e32 v1, v8
	s_cbranch_scc1 .LBB7_12
.LBB7_13:
	s_mov_b64 s[12:13], 0
.LBB7_14:
	s_andn2_b64 vcc, exec, s[12:13]
	s_cbranch_vccnz .LBB7_17
; %bb.15:
	v_mul_hi_u32 v0, s6, v12
	v_add_u32_e32 v0, v12, v0
	v_lshrrev_b32_e32 v0, s7, v0
	v_mul_lo_u32 v1, v0, s5
	v_sub_u32_e32 v1, v12, v1
	v_mul_lo_u32 v6, v1, s40
	v_mul_lo_u32 v8, v1, s42
	s_andn2_b64 vcc, exec, s[56:57]
	v_mul_lo_u32 v4, v1, s41
	s_cbranch_vccnz .LBB7_17
; %bb.16:
	v_mul_hi_u32 v1, s9, v0
	v_add_u32_e32 v1, v0, v1
	v_lshrrev_b32_e32 v1, s10, v1
	v_mul_lo_u32 v1, v1, s8
	v_sub_u32_e32 v0, v0, v1
	v_mad_u64_u32 v[6:7], s[12:13], v0, s43, v[6:7]
	v_mad_u64_u32 v[4:5], s[12:13], v0, s54, v[4:5]
	;; [unrolled: 1-line block ×3, first 2 shown]
.LBB7_17:
	s_andn2_b64 vcc, exec, s[52:53]
	s_cbranch_vccnz .LBB7_20
; %bb.18:
	s_waitcnt lgkmcnt(0)
	global_load_dwordx4 v[0:3], v6, s[36:37]
	v_mov_b32_e32 v7, 0
	v_mov_b32_e32 v5, v7
	;; [unrolled: 1-line block ×3, first 2 shown]
	s_ashr_i32 s31, s30, 31
	v_lshl_add_u64 v[4:5], s[38:39], 0, v[4:5]
	s_ashr_i32 s15, s29, 31
	s_mov_b32 s14, s29
	v_lshl_add_u64 v[10:11], s[36:37], 0, v[6:7]
	v_lshl_add_u64 v[6:7], s[34:35], 0, v[8:9]
	s_lshl_b64 s[12:13], s[30:31], 3
	v_lshl_add_u64 v[4:5], v[4:5], 0, 8
	s_lshl_b64 s[14:15], s[14:15], 4
	s_mov_b32 s4, s28
.LBB7_19:                               ; =>This Inner Loop Header: Depth=1
	global_load_dwordx2 v[8:9], v[6:7], off
	global_load_dwordx4 v[14:17], v[4:5], off offset:-8
	s_add_i32 s4, s4, -1
	v_lshl_add_u64 v[6:7], v[6:7], 0, s[12:13]
	v_lshl_add_u64 v[4:5], v[4:5], 0, s[14:15]
	s_cmp_lg_u32 s4, 0
	s_waitcnt vmcnt(0)
	v_fmac_f64_e32 v[0:1], v[8:9], v[14:15]
	v_fmac_f64_e32 v[2:3], v[8:9], v[16:17]
	global_store_dwordx4 v[10:11], v[0:3], off
	s_cbranch_scc1 .LBB7_19
.LBB7_20:
	v_add_u32_e32 v12, 0x100, v12
	s_or_b64 exec, exec, s[60:61]
	v_cmp_gt_i32_e32 vcc, s66, v12
	s_and_saveexec_b64 s[60:61], vcc
	s_cbranch_execz .LBB7_2
.LBB7_21:
	s_and_b64 vcc, exec, s[0:1]
	s_cbranch_vccnz .LBB7_27
; %bb.22:
	v_mov_b32_e32 v8, 0
	s_andn2_b64 vcc, exec, s[2:3]
	v_mov_b32_e32 v4, 0
	v_mov_b32_e32 v6, 0
	s_cbranch_vccnz .LBB7_31
; %bb.23:
	s_add_i32 s31, s65, 1
	s_cmp_eq_u32 s64, 2
	s_cbranch_scc1 .LBB7_28
; %bb.24:
	s_and_b32 s4, s31, 28
	v_mov_b32_e32 v6, 0
	s_mov_b32 s67, 0
	s_mov_b64 s[62:63], s[58:59]
	v_mov_b32_e32 v0, v12
	v_mov_b32_e32 v4, 0
	;; [unrolled: 1-line block ×3, first 2 shown]
.LBB7_25:                               ; =>This Inner Loop Header: Depth=1
	s_load_dwordx8 s[12:19], s[62:63], 0x0
	s_load_dwordx4 s[44:47], s[62:63], 0x20
	s_load_dwordx4 s[48:51], s[62:63], 0xe0
	s_load_dwordx8 s[20:27], s[62:63], 0xc0
	s_add_i32 s67, s67, 4
	s_waitcnt lgkmcnt(0)
	v_mul_hi_u32 v1, s13, v0
	v_add_u32_e32 v1, v0, v1
	v_lshrrev_b32_e32 v1, s14, v1
	v_mul_lo_u32 v2, v1, s12
	v_mul_hi_u32 v3, s16, v1
	v_sub_u32_e32 v0, v0, v2
	v_add_u32_e32 v2, v1, v3
	v_lshrrev_b32_e32 v2, s17, v2
	v_mul_lo_u32 v7, v2, s15
	v_mul_hi_u32 v9, s19, v2
	v_sub_u32_e32 v1, v1, v7
	v_add_u32_e32 v7, v2, v9
	v_mul_lo_u32 v3, v0, s20
	v_mul_lo_u32 v5, v0, s22
	;; [unrolled: 1-line block ×6, first 2 shown]
	v_lshrrev_b32_e32 v7, s44, v7
	v_add3_u32 v1, v0, v4, v1
	v_add3_u32 v4, v5, v8, v10
	v_mul_lo_u32 v0, v7, s18
	v_mul_hi_u32 v5, s46, v7
	v_sub_u32_e32 v0, v2, v0
	v_add_u32_e32 v2, v7, v5
	v_add3_u32 v3, v3, v6, v9
	v_mul_lo_u32 v5, v0, s26
	v_mul_lo_u32 v9, v0, s27
	;; [unrolled: 1-line block ×3, first 2 shown]
	v_lshrrev_b32_e32 v0, s47, v2
	v_mul_lo_u32 v2, v0, s45
	s_add_u32 s62, s62, 48
	v_sub_u32_e32 v2, v7, v2
	s_addc_u32 s63, s63, 0
	v_mul_lo_u32 v6, v2, s49
	v_mul_lo_u32 v7, v2, s50
	;; [unrolled: 1-line block ×3, first 2 shown]
	s_cmp_eq_u32 s4, s67
	v_add3_u32 v6, v5, v3, v6
	v_add3_u32 v8, v8, v4, v2
	;; [unrolled: 1-line block ×3, first 2 shown]
	s_cbranch_scc0 .LBB7_25
; %bb.26:
	v_mov_b32_e32 v1, v8
	s_and_b32 s14, s31, 3
	s_cmp_eq_u32 s14, 0
	s_cbranch_scc0 .LBB7_29
	s_branch .LBB7_31
.LBB7_27:
                                        ; implicit-def: $vgpr8
                                        ; implicit-def: $vgpr4
                                        ; implicit-def: $vgpr6
	s_branch .LBB7_32
.LBB7_28:
	v_mov_b32_e32 v4, 0
	s_mov_b32 s4, 0
	v_mov_b32_e32 v1, v4
                                        ; implicit-def: $vgpr8
	v_mov_b32_e32 v0, v12
	v_mov_b32_e32 v6, v4
	s_and_b32 s14, s31, 3
	s_cmp_eq_u32 s14, 0
	s_cbranch_scc1 .LBB7_31
.LBB7_29:
	s_mul_i32 s4, s4, 12
	s_add_u32 s4, s11, s4
	s_addc_u32 s13, s33, 0
	s_add_u32 s12, s4, 4
	s_addc_u32 s13, s13, 0
.LBB7_30:                               ; =>This Inner Loop Header: Depth=1
	s_load_dwordx2 s[16:17], s[12:13], 0x0
	s_load_dword s4, s[12:13], 0x8
	s_load_dwordx2 s[18:19], s[12:13], 0xc0
	s_load_dword s15, s[12:13], 0xc8
	v_mov_b32_e32 v2, v1
	s_waitcnt lgkmcnt(0)
	v_mul_hi_u32 v1, s17, v0
	v_add_u32_e32 v1, v0, v1
	v_lshrrev_b32_e32 v1, s4, v1
	v_mul_lo_u32 v3, v1, s16
	s_add_u32 s12, s12, 12
	v_sub_u32_e32 v3, v0, v3
	s_addc_u32 s13, s13, 0
	s_add_i32 s14, s14, -1
	v_mad_u64_u32 v[8:9], s[16:17], v3, s15, v[2:3]
	s_cmp_lg_u32 s14, 0
	v_mov_b32_e32 v0, v1
	v_mad_u64_u32 v[6:7], s[16:17], v3, s18, v[6:7]
	v_mad_u64_u32 v[4:5], s[16:17], v3, s19, v[4:5]
	v_mov_b32_e32 v1, v8
	s_cbranch_scc1 .LBB7_30
.LBB7_31:
	s_cbranch_execnz .LBB7_34
.LBB7_32:
	v_mul_hi_u32 v0, s6, v12
	v_add_u32_e32 v0, v12, v0
	v_lshrrev_b32_e32 v0, s7, v0
	v_mul_lo_u32 v1, v0, s5
	v_sub_u32_e32 v1, v12, v1
	v_mul_lo_u32 v6, v1, s40
	v_mul_lo_u32 v8, v1, s42
	s_andn2_b64 vcc, exec, s[56:57]
	v_mul_lo_u32 v4, v1, s41
	s_cbranch_vccnz .LBB7_34
; %bb.33:
	v_mul_hi_u32 v1, s9, v0
	v_add_u32_e32 v1, v0, v1
	v_lshrrev_b32_e32 v1, s10, v1
	v_mul_lo_u32 v1, v1, s8
	v_sub_u32_e32 v0, v0, v1
	v_mad_u64_u32 v[6:7], s[12:13], v0, s43, v[6:7]
	v_mad_u64_u32 v[4:5], s[12:13], v0, s54, v[4:5]
	;; [unrolled: 1-line block ×3, first 2 shown]
.LBB7_34:
	s_andn2_b64 vcc, exec, s[52:53]
	s_cbranch_vccnz .LBB7_37
; %bb.35:
	s_waitcnt lgkmcnt(0)
	global_load_dwordx4 v[0:3], v6, s[36:37]
	v_mov_b32_e32 v7, 0
	v_mov_b32_e32 v5, v7
	;; [unrolled: 1-line block ×3, first 2 shown]
	s_ashr_i32 s31, s30, 31
	v_lshl_add_u64 v[4:5], s[38:39], 0, v[4:5]
	s_ashr_i32 s15, s29, 31
	s_mov_b32 s14, s29
	v_lshl_add_u64 v[10:11], s[36:37], 0, v[6:7]
	v_lshl_add_u64 v[6:7], s[34:35], 0, v[8:9]
	s_lshl_b64 s[12:13], s[30:31], 3
	v_lshl_add_u64 v[4:5], v[4:5], 0, 8
	s_lshl_b64 s[14:15], s[14:15], 4
	s_mov_b32 s4, s28
.LBB7_36:                               ; =>This Inner Loop Header: Depth=1
	global_load_dwordx2 v[8:9], v[6:7], off
	global_load_dwordx4 v[14:17], v[4:5], off offset:-8
	s_add_i32 s4, s4, -1
	v_lshl_add_u64 v[6:7], v[6:7], 0, s[12:13]
	v_lshl_add_u64 v[4:5], v[4:5], 0, s[14:15]
	s_cmp_lg_u32 s4, 0
	s_waitcnt vmcnt(0)
	v_fmac_f64_e32 v[0:1], v[8:9], v[14:15]
	v_fmac_f64_e32 v[2:3], v[8:9], v[16:17]
	global_store_dwordx4 v[10:11], v[0:3], off
	s_cbranch_scc1 .LBB7_36
.LBB7_37:
	v_add_u32_e32 v12, 0x100, v12
	s_or_b64 exec, exec, s[60:61]
	v_cmp_gt_i32_e32 vcc, s66, v12
	s_and_saveexec_b64 s[60:61], vcc
	s_cbranch_execz .LBB7_3
.LBB7_38:
	s_and_b64 vcc, exec, s[0:1]
	s_cbranch_vccnz .LBB7_44
; %bb.39:
	v_mov_b32_e32 v8, 0
	s_andn2_b64 vcc, exec, s[2:3]
	v_mov_b32_e32 v4, 0
	v_mov_b32_e32 v6, 0
	s_cbranch_vccnz .LBB7_48
; %bb.40:
	s_add_i32 s31, s65, 1
	s_cmp_eq_u32 s64, 2
	s_cbranch_scc1 .LBB7_45
; %bb.41:
	s_and_b32 s4, s31, 28
	v_mov_b32_e32 v6, 0
	s_mov_b32 s67, 0
	s_mov_b64 s[62:63], s[58:59]
	v_mov_b32_e32 v0, v12
	v_mov_b32_e32 v4, 0
	;; [unrolled: 1-line block ×3, first 2 shown]
.LBB7_42:                               ; =>This Inner Loop Header: Depth=1
	s_load_dwordx8 s[12:19], s[62:63], 0x0
	s_load_dwordx4 s[44:47], s[62:63], 0x20
	s_load_dwordx4 s[48:51], s[62:63], 0xe0
	s_load_dwordx8 s[20:27], s[62:63], 0xc0
	s_add_i32 s67, s67, 4
	s_waitcnt lgkmcnt(0)
	v_mul_hi_u32 v1, s13, v0
	v_add_u32_e32 v1, v0, v1
	v_lshrrev_b32_e32 v1, s14, v1
	v_mul_lo_u32 v2, v1, s12
	v_mul_hi_u32 v3, s16, v1
	v_sub_u32_e32 v0, v0, v2
	v_add_u32_e32 v2, v1, v3
	v_lshrrev_b32_e32 v2, s17, v2
	v_mul_lo_u32 v7, v2, s15
	v_mul_hi_u32 v9, s19, v2
	v_sub_u32_e32 v1, v1, v7
	v_add_u32_e32 v7, v2, v9
	v_mul_lo_u32 v3, v0, s20
	v_mul_lo_u32 v5, v0, s22
	;; [unrolled: 1-line block ×6, first 2 shown]
	v_lshrrev_b32_e32 v7, s44, v7
	v_add3_u32 v1, v0, v4, v1
	v_add3_u32 v4, v5, v8, v10
	v_mul_lo_u32 v0, v7, s18
	v_mul_hi_u32 v5, s46, v7
	v_sub_u32_e32 v0, v2, v0
	v_add_u32_e32 v2, v7, v5
	v_add3_u32 v3, v3, v6, v9
	v_mul_lo_u32 v5, v0, s26
	v_mul_lo_u32 v9, v0, s27
	;; [unrolled: 1-line block ×3, first 2 shown]
	v_lshrrev_b32_e32 v0, s47, v2
	v_mul_lo_u32 v2, v0, s45
	s_add_u32 s62, s62, 48
	v_sub_u32_e32 v2, v7, v2
	s_addc_u32 s63, s63, 0
	v_mul_lo_u32 v6, v2, s49
	v_mul_lo_u32 v7, v2, s50
	;; [unrolled: 1-line block ×3, first 2 shown]
	s_cmp_eq_u32 s4, s67
	v_add3_u32 v6, v5, v3, v6
	v_add3_u32 v8, v8, v4, v2
	;; [unrolled: 1-line block ×3, first 2 shown]
	s_cbranch_scc0 .LBB7_42
; %bb.43:
	v_mov_b32_e32 v1, v8
	s_and_b32 s14, s31, 3
	s_cmp_eq_u32 s14, 0
	s_cbranch_scc0 .LBB7_46
	s_branch .LBB7_48
.LBB7_44:
                                        ; implicit-def: $vgpr8
                                        ; implicit-def: $vgpr4
                                        ; implicit-def: $vgpr6
	s_branch .LBB7_49
.LBB7_45:
	v_mov_b32_e32 v4, 0
	s_mov_b32 s4, 0
	v_mov_b32_e32 v1, v4
                                        ; implicit-def: $vgpr8
	v_mov_b32_e32 v0, v12
	v_mov_b32_e32 v6, v4
	s_and_b32 s14, s31, 3
	s_cmp_eq_u32 s14, 0
	s_cbranch_scc1 .LBB7_48
.LBB7_46:
	s_mul_i32 s4, s4, 12
	s_add_u32 s4, s11, s4
	s_addc_u32 s13, s33, 0
	s_add_u32 s12, s4, 4
	s_addc_u32 s13, s13, 0
.LBB7_47:                               ; =>This Inner Loop Header: Depth=1
	s_load_dwordx2 s[16:17], s[12:13], 0x0
	s_load_dword s4, s[12:13], 0x8
	s_load_dwordx2 s[18:19], s[12:13], 0xc0
	s_load_dword s15, s[12:13], 0xc8
	v_mov_b32_e32 v2, v1
	s_waitcnt lgkmcnt(0)
	v_mul_hi_u32 v1, s17, v0
	v_add_u32_e32 v1, v0, v1
	v_lshrrev_b32_e32 v1, s4, v1
	v_mul_lo_u32 v3, v1, s16
	s_add_u32 s12, s12, 12
	v_sub_u32_e32 v3, v0, v3
	s_addc_u32 s13, s13, 0
	s_add_i32 s14, s14, -1
	v_mad_u64_u32 v[8:9], s[16:17], v3, s15, v[2:3]
	s_cmp_lg_u32 s14, 0
	v_mov_b32_e32 v0, v1
	v_mad_u64_u32 v[6:7], s[16:17], v3, s18, v[6:7]
	v_mad_u64_u32 v[4:5], s[16:17], v3, s19, v[4:5]
	v_mov_b32_e32 v1, v8
	s_cbranch_scc1 .LBB7_47
.LBB7_48:
	s_cbranch_execnz .LBB7_51
.LBB7_49:
	v_mul_hi_u32 v0, s6, v12
	v_add_u32_e32 v0, v12, v0
	v_lshrrev_b32_e32 v0, s7, v0
	v_mul_lo_u32 v1, v0, s5
	v_sub_u32_e32 v1, v12, v1
	v_mul_lo_u32 v6, v1, s40
	v_mul_lo_u32 v8, v1, s42
	s_andn2_b64 vcc, exec, s[56:57]
	v_mul_lo_u32 v4, v1, s41
	s_cbranch_vccnz .LBB7_51
; %bb.50:
	v_mul_hi_u32 v1, s9, v0
	v_add_u32_e32 v1, v0, v1
	v_lshrrev_b32_e32 v1, s10, v1
	v_mul_lo_u32 v1, v1, s8
	v_sub_u32_e32 v0, v0, v1
	v_mad_u64_u32 v[6:7], s[12:13], v0, s43, v[6:7]
	v_mad_u64_u32 v[4:5], s[12:13], v0, s54, v[4:5]
	;; [unrolled: 1-line block ×3, first 2 shown]
.LBB7_51:
	s_andn2_b64 vcc, exec, s[52:53]
	s_cbranch_vccnz .LBB7_54
; %bb.52:
	s_waitcnt lgkmcnt(0)
	global_load_dwordx4 v[0:3], v6, s[36:37]
	v_mov_b32_e32 v7, 0
	v_mov_b32_e32 v5, v7
	;; [unrolled: 1-line block ×3, first 2 shown]
	s_ashr_i32 s31, s30, 31
	v_lshl_add_u64 v[4:5], s[38:39], 0, v[4:5]
	s_ashr_i32 s15, s29, 31
	s_mov_b32 s14, s29
	v_lshl_add_u64 v[10:11], s[36:37], 0, v[6:7]
	v_lshl_add_u64 v[6:7], s[34:35], 0, v[8:9]
	s_lshl_b64 s[12:13], s[30:31], 3
	v_lshl_add_u64 v[4:5], v[4:5], 0, 8
	s_lshl_b64 s[14:15], s[14:15], 4
	s_mov_b32 s4, s28
.LBB7_53:                               ; =>This Inner Loop Header: Depth=1
	global_load_dwordx2 v[8:9], v[6:7], off
	global_load_dwordx4 v[14:17], v[4:5], off offset:-8
	s_add_i32 s4, s4, -1
	v_lshl_add_u64 v[6:7], v[6:7], 0, s[12:13]
	v_lshl_add_u64 v[4:5], v[4:5], 0, s[14:15]
	s_cmp_lg_u32 s4, 0
	s_waitcnt vmcnt(0)
	v_fmac_f64_e32 v[0:1], v[8:9], v[14:15]
	v_fmac_f64_e32 v[2:3], v[8:9], v[16:17]
	global_store_dwordx4 v[10:11], v[0:3], off
	s_cbranch_scc1 .LBB7_53
.LBB7_54:
	v_add_u32_e32 v12, 0x100, v12
	s_or_b64 exec, exec, s[60:61]
	v_cmp_gt_i32_e32 vcc, s66, v12
	s_and_saveexec_b64 s[12:13], vcc
	s_cbranch_execz .LBB7_71
.LBB7_55:
	s_and_b64 vcc, exec, s[0:1]
	s_cbranch_vccnz .LBB7_61
; %bb.56:
	v_mov_b32_e32 v8, 0
	s_andn2_b64 vcc, exec, s[2:3]
	v_mov_b32_e32 v4, 0
	v_mov_b32_e32 v6, 0
	s_cbranch_vccnz .LBB7_65
; %bb.57:
	s_add_i32 s65, s65, 1
	s_cmp_eq_u32 s64, 2
	s_cbranch_scc1 .LBB7_62
; %bb.58:
	s_and_b32 s4, s65, 28
	v_mov_b32_e32 v6, 0
	s_mov_b32 s31, 0
	v_mov_b32_e32 v0, v12
	v_mov_b32_e32 v4, 0
	;; [unrolled: 1-line block ×3, first 2 shown]
.LBB7_59:                               ; =>This Inner Loop Header: Depth=1
	s_load_dwordx8 s[12:19], s[58:59], 0x0
	s_load_dwordx4 s[0:3], s[58:59], 0x20
	s_load_dwordx4 s[44:47], s[58:59], 0xe0
	s_load_dwordx8 s[20:27], s[58:59], 0xc0
	s_add_i32 s31, s31, 4
	s_waitcnt lgkmcnt(0)
	v_mul_hi_u32 v1, s13, v0
	v_add_u32_e32 v1, v0, v1
	v_lshrrev_b32_e32 v1, s14, v1
	v_mul_lo_u32 v2, v1, s12
	v_mul_hi_u32 v3, s16, v1
	v_sub_u32_e32 v0, v0, v2
	v_add_u32_e32 v2, v1, v3
	v_lshrrev_b32_e32 v2, s17, v2
	v_mul_lo_u32 v7, v2, s15
	v_mul_hi_u32 v9, s19, v2
	v_sub_u32_e32 v1, v1, v7
	v_add_u32_e32 v7, v2, v9
	v_mul_lo_u32 v3, v0, s20
	v_mul_lo_u32 v5, v0, s22
	;; [unrolled: 1-line block ×6, first 2 shown]
	v_lshrrev_b32_e32 v7, s0, v7
	v_add3_u32 v1, v0, v4, v1
	v_add3_u32 v4, v5, v8, v10
	v_mul_lo_u32 v0, v7, s18
	v_mul_hi_u32 v5, s2, v7
	v_sub_u32_e32 v0, v2, v0
	v_add_u32_e32 v2, v7, v5
	v_add3_u32 v3, v3, v6, v9
	v_mul_lo_u32 v5, v0, s26
	v_mul_lo_u32 v9, v0, s27
	;; [unrolled: 1-line block ×3, first 2 shown]
	v_lshrrev_b32_e32 v0, s3, v2
	v_mul_lo_u32 v2, v0, s1
	s_add_u32 s58, s58, 48
	v_sub_u32_e32 v2, v7, v2
	s_addc_u32 s59, s59, 0
	v_mul_lo_u32 v6, v2, s45
	v_mul_lo_u32 v7, v2, s46
	;; [unrolled: 1-line block ×3, first 2 shown]
	s_cmp_eq_u32 s4, s31
	v_add3_u32 v6, v5, v3, v6
	v_add3_u32 v8, v8, v4, v2
	;; [unrolled: 1-line block ×3, first 2 shown]
	s_cbranch_scc0 .LBB7_59
; %bb.60:
	v_mov_b32_e32 v1, v8
	s_and_b32 s2, s65, 3
	s_cmp_eq_u32 s2, 0
	s_cbranch_scc0 .LBB7_63
	s_branch .LBB7_65
.LBB7_61:
                                        ; implicit-def: $vgpr8
                                        ; implicit-def: $vgpr4
                                        ; implicit-def: $vgpr6
	s_branch .LBB7_66
.LBB7_62:
	v_mov_b32_e32 v4, 0
	s_mov_b32 s4, 0
	v_mov_b32_e32 v1, v4
                                        ; implicit-def: $vgpr8
	v_mov_b32_e32 v0, v12
	v_mov_b32_e32 v6, v4
	s_and_b32 s2, s65, 3
	s_cmp_eq_u32 s2, 0
	s_cbranch_scc1 .LBB7_65
.LBB7_63:
	s_mul_i32 s0, s4, 12
	s_add_u32 s0, s11, s0
	s_addc_u32 s1, s33, 0
	s_add_u32 s0, s0, 4
	s_addc_u32 s1, s1, 0
.LBB7_64:                               ; =>This Inner Loop Header: Depth=1
	s_load_dwordx2 s[12:13], s[0:1], 0x0
	s_load_dword s3, s[0:1], 0x8
	s_load_dwordx2 s[14:15], s[0:1], 0xc0
	s_load_dword s4, s[0:1], 0xc8
	v_mov_b32_e32 v2, v1
	s_waitcnt lgkmcnt(0)
	v_mul_hi_u32 v1, s13, v0
	v_add_u32_e32 v1, v0, v1
	v_lshrrev_b32_e32 v1, s3, v1
	v_mul_lo_u32 v3, v1, s12
	s_add_u32 s0, s0, 12
	v_sub_u32_e32 v3, v0, v3
	s_addc_u32 s1, s1, 0
	s_add_i32 s2, s2, -1
	v_mad_u64_u32 v[8:9], s[12:13], v3, s4, v[2:3]
	s_cmp_lg_u32 s2, 0
	v_mov_b32_e32 v0, v1
	v_mad_u64_u32 v[6:7], s[12:13], v3, s14, v[6:7]
	v_mad_u64_u32 v[4:5], s[12:13], v3, s15, v[4:5]
	v_mov_b32_e32 v1, v8
	s_cbranch_scc1 .LBB7_64
.LBB7_65:
	s_cbranch_execnz .LBB7_68
.LBB7_66:
	v_mul_hi_u32 v0, s6, v12
	v_add_u32_e32 v0, v12, v0
	v_lshrrev_b32_e32 v0, s7, v0
	v_mul_lo_u32 v1, v0, s5
	v_sub_u32_e32 v1, v12, v1
	v_mul_lo_u32 v6, v1, s40
	v_mul_lo_u32 v8, v1, s42
	s_andn2_b64 vcc, exec, s[56:57]
	v_mul_lo_u32 v4, v1, s41
	s_cbranch_vccnz .LBB7_68
; %bb.67:
	v_mul_hi_u32 v1, s9, v0
	v_add_u32_e32 v1, v0, v1
	v_lshrrev_b32_e32 v1, s10, v1
	v_mul_lo_u32 v1, v1, s8
	v_sub_u32_e32 v0, v0, v1
	v_mad_u64_u32 v[6:7], s[0:1], v0, s43, v[6:7]
	v_mad_u64_u32 v[4:5], s[0:1], v0, s54, v[4:5]
	;; [unrolled: 1-line block ×3, first 2 shown]
.LBB7_68:
	s_andn2_b64 vcc, exec, s[52:53]
	s_cbranch_vccnz .LBB7_71
; %bb.69:
	s_waitcnt lgkmcnt(0)
	global_load_dwordx4 v[0:3], v6, s[36:37]
	v_mov_b32_e32 v7, 0
	v_mov_b32_e32 v5, v7
	;; [unrolled: 1-line block ×3, first 2 shown]
	s_ashr_i32 s31, s30, 31
	v_lshl_add_u64 v[4:5], s[38:39], 0, v[4:5]
	s_ashr_i32 s3, s29, 31
	s_mov_b32 s2, s29
	v_lshl_add_u64 v[10:11], s[36:37], 0, v[6:7]
	v_lshl_add_u64 v[6:7], s[34:35], 0, v[8:9]
	s_lshl_b64 s[0:1], s[30:31], 3
	v_lshl_add_u64 v[4:5], v[4:5], 0, 8
	s_lshl_b64 s[2:3], s[2:3], 4
.LBB7_70:                               ; =>This Inner Loop Header: Depth=1
	global_load_dwordx2 v[8:9], v[6:7], off
	global_load_dwordx4 v[12:15], v[4:5], off offset:-8
	s_add_i32 s28, s28, -1
	v_lshl_add_u64 v[6:7], v[6:7], 0, s[0:1]
	v_lshl_add_u64 v[4:5], v[4:5], 0, s[2:3]
	s_cmp_lg_u32 s28, 0
	s_waitcnt vmcnt(0)
	v_fmac_f64_e32 v[0:1], v[8:9], v[12:13]
	v_fmac_f64_e32 v[2:3], v[8:9], v[14:15]
	global_store_dwordx4 v[10:11], v[0:3], off
	s_cbranch_scc1 .LBB7_70
.LBB7_71:
	s_endpgm
	.section	.rodata,"a",@progbits
	.p2align	6, 0x0
	.amdhsa_kernel _ZN2at6native12_GLOBAL__N_116_elemwise_kernelILi256ELi4EZNS1_43_compute_linear_combination_internal_kernelIN3c107complexIdEEEEvRNS_14TensorIteratorEiiiEUliE_EEviT1_
		.amdhsa_group_segment_fixed_size 0
		.amdhsa_private_segment_fixed_size 0
		.amdhsa_kernarg_size 440
		.amdhsa_user_sgpr_count 2
		.amdhsa_user_sgpr_dispatch_ptr 0
		.amdhsa_user_sgpr_queue_ptr 0
		.amdhsa_user_sgpr_kernarg_segment_ptr 1
		.amdhsa_user_sgpr_dispatch_id 0
		.amdhsa_user_sgpr_kernarg_preload_length 0
		.amdhsa_user_sgpr_kernarg_preload_offset 0
		.amdhsa_user_sgpr_private_segment_size 0
		.amdhsa_uses_dynamic_stack 0
		.amdhsa_enable_private_segment 0
		.amdhsa_system_sgpr_workgroup_id_x 1
		.amdhsa_system_sgpr_workgroup_id_y 0
		.amdhsa_system_sgpr_workgroup_id_z 0
		.amdhsa_system_sgpr_workgroup_info 0
		.amdhsa_system_vgpr_workitem_id 0
		.amdhsa_next_free_vgpr 18
		.amdhsa_next_free_sgpr 68
		.amdhsa_accum_offset 20
		.amdhsa_reserve_vcc 1
		.amdhsa_float_round_mode_32 0
		.amdhsa_float_round_mode_16_64 0
		.amdhsa_float_denorm_mode_32 3
		.amdhsa_float_denorm_mode_16_64 3
		.amdhsa_dx10_clamp 1
		.amdhsa_ieee_mode 1
		.amdhsa_fp16_overflow 0
		.amdhsa_tg_split 0
		.amdhsa_exception_fp_ieee_invalid_op 0
		.amdhsa_exception_fp_denorm_src 0
		.amdhsa_exception_fp_ieee_div_zero 0
		.amdhsa_exception_fp_ieee_overflow 0
		.amdhsa_exception_fp_ieee_underflow 0
		.amdhsa_exception_fp_ieee_inexact 0
		.amdhsa_exception_int_div_zero 0
	.end_amdhsa_kernel
	.section	.text._ZN2at6native12_GLOBAL__N_116_elemwise_kernelILi256ELi4EZNS1_43_compute_linear_combination_internal_kernelIN3c107complexIdEEEEvRNS_14TensorIteratorEiiiEUliE_EEviT1_,"axG",@progbits,_ZN2at6native12_GLOBAL__N_116_elemwise_kernelILi256ELi4EZNS1_43_compute_linear_combination_internal_kernelIN3c107complexIdEEEEvRNS_14TensorIteratorEiiiEUliE_EEviT1_,comdat
.Lfunc_end7:
	.size	_ZN2at6native12_GLOBAL__N_116_elemwise_kernelILi256ELi4EZNS1_43_compute_linear_combination_internal_kernelIN3c107complexIdEEEEvRNS_14TensorIteratorEiiiEUliE_EEviT1_, .Lfunc_end7-_ZN2at6native12_GLOBAL__N_116_elemwise_kernelILi256ELi4EZNS1_43_compute_linear_combination_internal_kernelIN3c107complexIdEEEEvRNS_14TensorIteratorEiiiEUliE_EEviT1_
                                        ; -- End function
	.set _ZN2at6native12_GLOBAL__N_116_elemwise_kernelILi256ELi4EZNS1_43_compute_linear_combination_internal_kernelIN3c107complexIdEEEEvRNS_14TensorIteratorEiiiEUliE_EEviT1_.num_vgpr, 18
	.set _ZN2at6native12_GLOBAL__N_116_elemwise_kernelILi256ELi4EZNS1_43_compute_linear_combination_internal_kernelIN3c107complexIdEEEEvRNS_14TensorIteratorEiiiEUliE_EEviT1_.num_agpr, 0
	.set _ZN2at6native12_GLOBAL__N_116_elemwise_kernelILi256ELi4EZNS1_43_compute_linear_combination_internal_kernelIN3c107complexIdEEEEvRNS_14TensorIteratorEiiiEUliE_EEviT1_.numbered_sgpr, 68
	.set _ZN2at6native12_GLOBAL__N_116_elemwise_kernelILi256ELi4EZNS1_43_compute_linear_combination_internal_kernelIN3c107complexIdEEEEvRNS_14TensorIteratorEiiiEUliE_EEviT1_.num_named_barrier, 0
	.set _ZN2at6native12_GLOBAL__N_116_elemwise_kernelILi256ELi4EZNS1_43_compute_linear_combination_internal_kernelIN3c107complexIdEEEEvRNS_14TensorIteratorEiiiEUliE_EEviT1_.private_seg_size, 0
	.set _ZN2at6native12_GLOBAL__N_116_elemwise_kernelILi256ELi4EZNS1_43_compute_linear_combination_internal_kernelIN3c107complexIdEEEEvRNS_14TensorIteratorEiiiEUliE_EEviT1_.uses_vcc, 1
	.set _ZN2at6native12_GLOBAL__N_116_elemwise_kernelILi256ELi4EZNS1_43_compute_linear_combination_internal_kernelIN3c107complexIdEEEEvRNS_14TensorIteratorEiiiEUliE_EEviT1_.uses_flat_scratch, 0
	.set _ZN2at6native12_GLOBAL__N_116_elemwise_kernelILi256ELi4EZNS1_43_compute_linear_combination_internal_kernelIN3c107complexIdEEEEvRNS_14TensorIteratorEiiiEUliE_EEviT1_.has_dyn_sized_stack, 0
	.set _ZN2at6native12_GLOBAL__N_116_elemwise_kernelILi256ELi4EZNS1_43_compute_linear_combination_internal_kernelIN3c107complexIdEEEEvRNS_14TensorIteratorEiiiEUliE_EEviT1_.has_recursion, 0
	.set _ZN2at6native12_GLOBAL__N_116_elemwise_kernelILi256ELi4EZNS1_43_compute_linear_combination_internal_kernelIN3c107complexIdEEEEvRNS_14TensorIteratorEiiiEUliE_EEviT1_.has_indirect_call, 0
	.section	.AMDGPU.csdata,"",@progbits
; Kernel info:
; codeLenInByte = 3664
; TotalNumSgprs: 74
; NumVgprs: 18
; NumAgprs: 0
; TotalNumVgprs: 18
; ScratchSize: 0
; MemoryBound: 0
; FloatMode: 240
; IeeeMode: 1
; LDSByteSize: 0 bytes/workgroup (compile time only)
; SGPRBlocks: 9
; VGPRBlocks: 2
; NumSGPRsForWavesPerEU: 74
; NumVGPRsForWavesPerEU: 18
; AccumOffset: 20
; Occupancy: 8
; WaveLimiterHint : 1
; COMPUTE_PGM_RSRC2:SCRATCH_EN: 0
; COMPUTE_PGM_RSRC2:USER_SGPR: 2
; COMPUTE_PGM_RSRC2:TRAP_HANDLER: 0
; COMPUTE_PGM_RSRC2:TGID_X_EN: 1
; COMPUTE_PGM_RSRC2:TGID_Y_EN: 0
; COMPUTE_PGM_RSRC2:TGID_Z_EN: 0
; COMPUTE_PGM_RSRC2:TIDIG_COMP_CNT: 0
; COMPUTE_PGM_RSRC3_GFX90A:ACCUM_OFFSET: 4
; COMPUTE_PGM_RSRC3_GFX90A:TG_SPLIT: 0
	.section	.text._ZN2at6native12_GLOBAL__N_116_elemwise_kernelILi256ELi4EZNS1_43_compute_linear_combination_internal_kernelIN3c107complexIfEEEEvRNS_14TensorIteratorEiiiEUliE_EEviT1_,"axG",@progbits,_ZN2at6native12_GLOBAL__N_116_elemwise_kernelILi256ELi4EZNS1_43_compute_linear_combination_internal_kernelIN3c107complexIfEEEEvRNS_14TensorIteratorEiiiEUliE_EEviT1_,comdat
	.globl	_ZN2at6native12_GLOBAL__N_116_elemwise_kernelILi256ELi4EZNS1_43_compute_linear_combination_internal_kernelIN3c107complexIfEEEEvRNS_14TensorIteratorEiiiEUliE_EEviT1_ ; -- Begin function _ZN2at6native12_GLOBAL__N_116_elemwise_kernelILi256ELi4EZNS1_43_compute_linear_combination_internal_kernelIN3c107complexIfEEEEvRNS_14TensorIteratorEiiiEUliE_EEviT1_
	.p2align	8
	.type	_ZN2at6native12_GLOBAL__N_116_elemwise_kernelILi256ELi4EZNS1_43_compute_linear_combination_internal_kernelIN3c107complexIfEEEEvRNS_14TensorIteratorEiiiEUliE_EEviT1_,@function
_ZN2at6native12_GLOBAL__N_116_elemwise_kernelILi256ELi4EZNS1_43_compute_linear_combination_internal_kernelIN3c107complexIfEEEEvRNS_14TensorIteratorEiiiEUliE_EEviT1_: ; @_ZN2at6native12_GLOBAL__N_116_elemwise_kernelILi256ELi4EZNS1_43_compute_linear_combination_internal_kernelIN3c107complexIfEEEEvRNS_14TensorIteratorEiiiEUliE_EEviT1_
; %bb.0:
	s_load_dword s66, s[0:1], 0x0
	s_load_dwordx8 s[4:11], s[0:1], 0x8
	s_load_dwordx4 s[40:43], s[0:1], 0xcc
	s_load_dwordx2 s[54:55], s[0:1], 0xdc
	s_load_dwordx4 s[28:31], s[0:1], 0x1a8
	v_lshl_or_b32 v10, s2, 10, v0
	s_waitcnt lgkmcnt(0)
	s_add_u32 s11, s0, 8
	s_load_dwordx2 s[34:35], s[0:1], 0x1a0
	s_load_dwordx4 s[36:39], s[0:1], 0x190
	v_sub_co_u32_e64 v0, s[2:3], s4, 1
	s_nop 0
	v_readfirstlane_b32 s64, v0
	s_addc_u32 s33, s1, 0
	s_xor_b64 s[2:3], s[2:3], -1
	s_or_b32 s58, s0, 12
	s_min_u32 s65, s64, 15
	s_mov_b32 s59, s1
	s_cmp_gt_u32 s4, 1
	v_cmp_lt_u32_e64 s[0:1], 1, v0
	s_cselect_b64 s[56:57], -1, 0
	s_cmp_gt_i32 s28, 0
	v_cndmask_b32_e64 v0, 0, 1, s[0:1]
	s_mov_b64 s[12:13], -1
	s_cselect_b64 s[52:53], -1, 0
	v_cmp_gt_i32_e32 vcc, s66, v10
	v_cmp_ne_u32_e64 s[0:1], 1, v0
	s_and_saveexec_b64 s[60:61], vcc
	s_cbranch_execnz .LBB8_4
; %bb.1:
	s_or_b64 exec, exec, s[60:61]
	v_cmp_gt_i32_e32 vcc, s66, v10
	s_and_saveexec_b64 s[60:61], vcc
	s_cbranch_execnz .LBB8_21
.LBB8_2:
	s_or_b64 exec, exec, s[60:61]
	v_cmp_gt_i32_e32 vcc, s66, v10
	s_and_saveexec_b64 s[60:61], vcc
	s_cbranch_execnz .LBB8_38
.LBB8_3:
	s_or_b64 exec, exec, s[60:61]
	v_cmp_gt_i32_e32 vcc, s66, v10
	s_and_saveexec_b64 s[12:13], vcc
	s_cbranch_execnz .LBB8_55
	s_branch .LBB8_71
.LBB8_4:
	s_and_b64 vcc, exec, s[0:1]
                                        ; implicit-def: $vgpr4
                                        ; implicit-def: $vgpr2
                                        ; implicit-def: $vgpr0
	s_cbranch_vccnz .LBB8_14
; %bb.5:
	v_mov_b32_e32 v4, 0
	s_andn2_b64 vcc, exec, s[2:3]
	v_mov_b32_e32 v2, 0
	v_mov_b32_e32 v0, 0
	s_cbranch_vccnz .LBB8_13
; %bb.6:
	s_add_i32 s31, s65, 1
	s_cmp_eq_u32 s64, 2
	s_cbranch_scc1 .LBB8_10
; %bb.7:
	s_and_b32 s4, s31, 28
	v_mov_b32_e32 v0, 0
	s_mov_b32 s67, 0
	s_mov_b64 s[62:63], s[58:59]
	v_mov_b32_e32 v6, v10
	v_mov_b32_e32 v2, 0
	;; [unrolled: 1-line block ×3, first 2 shown]
.LBB8_8:                                ; =>This Inner Loop Header: Depth=1
	s_load_dwordx8 s[12:19], s[62:63], 0x0
	s_load_dwordx4 s[44:47], s[62:63], 0x20
	s_load_dwordx4 s[48:51], s[62:63], 0xe0
	s_load_dwordx8 s[20:27], s[62:63], 0xc0
	s_add_i32 s67, s67, 4
	s_waitcnt lgkmcnt(0)
	v_mul_hi_u32 v1, s13, v6
	v_add_u32_e32 v1, v6, v1
	v_lshrrev_b32_e32 v1, s14, v1
	v_mul_hi_u32 v5, s16, v1
	v_add_u32_e32 v5, v1, v5
	v_lshrrev_b32_e32 v5, s17, v5
	v_mul_lo_u32 v3, v1, s12
	v_mul_lo_u32 v8, v5, s15
	v_mul_hi_u32 v9, s19, v5
	v_sub_u32_e32 v3, v6, v3
	v_sub_u32_e32 v1, v1, v8
	v_add_u32_e32 v8, v5, v9
	v_mul_lo_u32 v6, v3, s20
	v_mul_lo_u32 v7, v3, s22
	;; [unrolled: 1-line block ×6, first 2 shown]
	v_lshrrev_b32_e32 v8, s44, v8
	v_add3_u32 v1, v3, v2, v1
	v_add3_u32 v2, v7, v4, v11
	v_mul_hi_u32 v4, s46, v8
	v_add_u32_e32 v4, v8, v4
	v_add3_u32 v0, v6, v0, v9
	v_lshrrev_b32_e32 v6, s47, v4
	v_mul_lo_u32 v3, v8, s18
	v_mul_lo_u32 v4, v6, s45
	s_add_u32 s62, s62, 48
	v_sub_u32_e32 v3, v5, v3
	v_sub_u32_e32 v4, v8, v4
	s_addc_u32 s63, s63, 0
	v_mul_lo_u32 v5, v3, s26
	v_mul_lo_u32 v7, v3, s27
	;; [unrolled: 1-line block ×6, first 2 shown]
	s_cmp_lg_u32 s4, s67
	v_add3_u32 v0, v5, v0, v8
	v_add3_u32 v4, v3, v2, v4
	;; [unrolled: 1-line block ×3, first 2 shown]
	s_cbranch_scc1 .LBB8_8
; %bb.9:
	v_mov_b32_e32 v1, v4
	s_and_b32 s14, s31, 3
	s_cmp_eq_u32 s14, 0
	s_cbranch_scc0 .LBB8_11
	s_branch .LBB8_13
.LBB8_10:
	v_mov_b32_e32 v2, 0
	s_mov_b32 s4, 0
	v_mov_b32_e32 v1, v2
                                        ; implicit-def: $vgpr4
	v_mov_b32_e32 v6, v10
	v_mov_b32_e32 v0, v2
	s_and_b32 s14, s31, 3
	s_cmp_eq_u32 s14, 0
	s_cbranch_scc1 .LBB8_13
.LBB8_11:
	s_mul_i32 s4, s4, 12
	s_add_u32 s4, s11, s4
	s_addc_u32 s13, s33, 0
	s_add_u32 s12, s4, 4
	s_addc_u32 s13, s13, 0
.LBB8_12:                               ; =>This Inner Loop Header: Depth=1
	s_load_dwordx2 s[16:17], s[12:13], 0x0
	s_load_dword s4, s[12:13], 0x8
	s_load_dwordx2 s[18:19], s[12:13], 0xc0
	s_load_dword s15, s[12:13], 0xc8
	v_mov_b32_e32 v4, v1
	s_waitcnt lgkmcnt(0)
	v_mul_hi_u32 v1, s17, v6
	v_add_u32_e32 v1, v6, v1
	v_lshrrev_b32_e32 v1, s4, v1
	v_mul_lo_u32 v3, v1, s16
	s_add_u32 s12, s12, 12
	v_sub_u32_e32 v3, v6, v3
	s_addc_u32 s13, s13, 0
	s_add_i32 s14, s14, -1
	v_mov_b32_e32 v6, v1
	v_mad_u64_u32 v[0:1], s[16:17], v3, s18, v[0:1]
	v_mad_u64_u32 v[4:5], s[16:17], v3, s15, v[4:5]
	s_cmp_lg_u32 s14, 0
	v_mad_u64_u32 v[2:3], s[16:17], v3, s19, v[2:3]
	v_mov_b32_e32 v1, v4
	s_cbranch_scc1 .LBB8_12
.LBB8_13:
	s_mov_b64 s[12:13], 0
.LBB8_14:
	s_andn2_b64 vcc, exec, s[12:13]
	s_cbranch_vccnz .LBB8_17
; %bb.15:
	v_mul_hi_u32 v0, s6, v10
	v_add_u32_e32 v0, v10, v0
	v_lshrrev_b32_e32 v1, s7, v0
	v_mul_lo_u32 v0, v1, s5
	v_sub_u32_e32 v2, v10, v0
	v_mul_lo_u32 v0, v2, s40
	v_mul_lo_u32 v4, v2, s42
	s_andn2_b64 vcc, exec, s[56:57]
	v_mul_lo_u32 v2, v2, s41
	s_cbranch_vccnz .LBB8_17
; %bb.16:
	v_mul_hi_u32 v3, s9, v1
	v_add_u32_e32 v3, v1, v3
	v_lshrrev_b32_e32 v3, s10, v3
	v_mul_lo_u32 v3, v3, s8
	v_sub_u32_e32 v5, v1, v3
	v_mad_u64_u32 v[0:1], s[12:13], v5, s43, v[0:1]
	v_mad_u64_u32 v[2:3], s[12:13], v5, s54, v[2:3]
	;; [unrolled: 1-line block ×3, first 2 shown]
.LBB8_17:
	s_andn2_b64 vcc, exec, s[52:53]
	s_cbranch_vccnz .LBB8_20
; %bb.18:
	s_waitcnt lgkmcnt(0)
	global_load_dwordx2 v[6:7], v0, s[36:37]
	v_mov_b32_e32 v1, 0
	v_mov_b32_e32 v3, v1
	v_mov_b32_e32 v5, v1
	s_ashr_i32 s31, s30, 31
	s_ashr_i32 s15, s29, 31
	s_mov_b32 s14, s29
	v_lshl_add_u64 v[8:9], s[36:37], 0, v[0:1]
	v_lshl_add_u64 v[2:3], s[38:39], 0, v[2:3]
	;; [unrolled: 1-line block ×3, first 2 shown]
	s_lshl_b64 s[12:13], s[30:31], 2
	s_lshl_b64 s[14:15], s[14:15], 3
	s_mov_b32 s4, s28
.LBB8_19:                               ; =>This Inner Loop Header: Depth=1
	global_load_dwordx2 v[4:5], v[2:3], off
	global_load_dword v12, v[0:1], off
	s_add_i32 s4, s4, -1
	v_lshl_add_u64 v[0:1], v[0:1], 0, s[12:13]
	v_lshl_add_u64 v[2:3], v[2:3], 0, s[14:15]
	s_cmp_lg_u32 s4, 0
	s_waitcnt vmcnt(0)
	v_pk_fma_f32 v[6:7], v[12:13], v[4:5], v[6:7] op_sel_hi:[0,1,1]
	global_store_dwordx2 v[8:9], v[6:7], off
	s_cbranch_scc1 .LBB8_19
.LBB8_20:
	v_add_u32_e32 v10, 0x100, v10
	s_or_b64 exec, exec, s[60:61]
	v_cmp_gt_i32_e32 vcc, s66, v10
	s_and_saveexec_b64 s[60:61], vcc
	s_cbranch_execz .LBB8_2
.LBB8_21:
	s_and_b64 vcc, exec, s[0:1]
	s_cbranch_vccnz .LBB8_27
; %bb.22:
	v_mov_b32_e32 v4, 0
	s_andn2_b64 vcc, exec, s[2:3]
	v_mov_b32_e32 v2, 0
	v_mov_b32_e32 v0, 0
	s_cbranch_vccnz .LBB8_31
; %bb.23:
	s_add_i32 s31, s65, 1
	s_cmp_eq_u32 s64, 2
	s_cbranch_scc1 .LBB8_28
; %bb.24:
	s_and_b32 s4, s31, 28
	v_mov_b32_e32 v0, 0
	s_mov_b32 s67, 0
	s_mov_b64 s[62:63], s[58:59]
	v_mov_b32_e32 v6, v10
	v_mov_b32_e32 v2, 0
	v_mov_b32_e32 v4, 0
.LBB8_25:                               ; =>This Inner Loop Header: Depth=1
	s_load_dwordx8 s[12:19], s[62:63], 0x0
	s_load_dwordx4 s[44:47], s[62:63], 0x20
	s_load_dwordx4 s[48:51], s[62:63], 0xe0
	s_load_dwordx8 s[20:27], s[62:63], 0xc0
	s_add_i32 s67, s67, 4
	s_waitcnt lgkmcnt(0)
	v_mul_hi_u32 v1, s13, v6
	v_add_u32_e32 v1, v6, v1
	v_lshrrev_b32_e32 v1, s14, v1
	v_mul_hi_u32 v5, s16, v1
	v_add_u32_e32 v5, v1, v5
	v_lshrrev_b32_e32 v5, s17, v5
	v_mul_lo_u32 v3, v1, s12
	v_mul_lo_u32 v8, v5, s15
	v_mul_hi_u32 v9, s19, v5
	v_sub_u32_e32 v3, v6, v3
	v_sub_u32_e32 v1, v1, v8
	v_add_u32_e32 v8, v5, v9
	v_mul_lo_u32 v6, v3, s20
	v_mul_lo_u32 v7, v3, s22
	;; [unrolled: 1-line block ×6, first 2 shown]
	v_lshrrev_b32_e32 v8, s44, v8
	v_add3_u32 v1, v3, v2, v1
	v_add3_u32 v2, v7, v4, v11
	v_mul_hi_u32 v4, s46, v8
	v_add_u32_e32 v4, v8, v4
	v_add3_u32 v0, v6, v0, v9
	v_lshrrev_b32_e32 v6, s47, v4
	v_mul_lo_u32 v3, v8, s18
	v_mul_lo_u32 v4, v6, s45
	s_add_u32 s62, s62, 48
	v_sub_u32_e32 v3, v5, v3
	v_sub_u32_e32 v4, v8, v4
	s_addc_u32 s63, s63, 0
	v_mul_lo_u32 v5, v3, s26
	v_mul_lo_u32 v7, v3, s27
	;; [unrolled: 1-line block ×6, first 2 shown]
	s_cmp_eq_u32 s4, s67
	v_add3_u32 v0, v5, v0, v8
	v_add3_u32 v4, v3, v2, v4
	;; [unrolled: 1-line block ×3, first 2 shown]
	s_cbranch_scc0 .LBB8_25
; %bb.26:
	v_mov_b32_e32 v1, v4
	s_and_b32 s14, s31, 3
	s_cmp_eq_u32 s14, 0
	s_cbranch_scc0 .LBB8_29
	s_branch .LBB8_31
.LBB8_27:
                                        ; implicit-def: $vgpr4
                                        ; implicit-def: $vgpr2
                                        ; implicit-def: $vgpr0
	s_branch .LBB8_32
.LBB8_28:
	v_mov_b32_e32 v2, 0
	s_mov_b32 s4, 0
	v_mov_b32_e32 v1, v2
                                        ; implicit-def: $vgpr4
	v_mov_b32_e32 v6, v10
	v_mov_b32_e32 v0, v2
	s_and_b32 s14, s31, 3
	s_cmp_eq_u32 s14, 0
	s_cbranch_scc1 .LBB8_31
.LBB8_29:
	s_mul_i32 s4, s4, 12
	s_add_u32 s4, s11, s4
	s_addc_u32 s13, s33, 0
	s_add_u32 s12, s4, 4
	s_addc_u32 s13, s13, 0
.LBB8_30:                               ; =>This Inner Loop Header: Depth=1
	s_load_dwordx2 s[16:17], s[12:13], 0x0
	s_load_dword s4, s[12:13], 0x8
	s_load_dwordx2 s[18:19], s[12:13], 0xc0
	s_load_dword s15, s[12:13], 0xc8
	v_mov_b32_e32 v4, v1
	s_waitcnt lgkmcnt(0)
	v_mul_hi_u32 v1, s17, v6
	v_add_u32_e32 v1, v6, v1
	v_lshrrev_b32_e32 v1, s4, v1
	v_mul_lo_u32 v3, v1, s16
	s_add_u32 s12, s12, 12
	v_sub_u32_e32 v3, v6, v3
	s_addc_u32 s13, s13, 0
	s_add_i32 s14, s14, -1
	v_mov_b32_e32 v6, v1
	v_mad_u64_u32 v[0:1], s[16:17], v3, s18, v[0:1]
	v_mad_u64_u32 v[4:5], s[16:17], v3, s15, v[4:5]
	s_cmp_lg_u32 s14, 0
	v_mad_u64_u32 v[2:3], s[16:17], v3, s19, v[2:3]
	v_mov_b32_e32 v1, v4
	s_cbranch_scc1 .LBB8_30
.LBB8_31:
	s_cbranch_execnz .LBB8_34
.LBB8_32:
	v_mul_hi_u32 v0, s6, v10
	v_add_u32_e32 v0, v10, v0
	v_lshrrev_b32_e32 v1, s7, v0
	v_mul_lo_u32 v0, v1, s5
	v_sub_u32_e32 v2, v10, v0
	v_mul_lo_u32 v0, v2, s40
	v_mul_lo_u32 v4, v2, s42
	s_andn2_b64 vcc, exec, s[56:57]
	v_mul_lo_u32 v2, v2, s41
	s_cbranch_vccnz .LBB8_34
; %bb.33:
	v_mul_hi_u32 v3, s9, v1
	v_add_u32_e32 v3, v1, v3
	v_lshrrev_b32_e32 v3, s10, v3
	v_mul_lo_u32 v3, v3, s8
	v_sub_u32_e32 v5, v1, v3
	v_mad_u64_u32 v[0:1], s[12:13], v5, s43, v[0:1]
	v_mad_u64_u32 v[2:3], s[12:13], v5, s54, v[2:3]
	;; [unrolled: 1-line block ×3, first 2 shown]
.LBB8_34:
	s_andn2_b64 vcc, exec, s[52:53]
	s_cbranch_vccnz .LBB8_37
; %bb.35:
	s_waitcnt lgkmcnt(0)
	global_load_dwordx2 v[6:7], v0, s[36:37]
	v_mov_b32_e32 v1, 0
	v_mov_b32_e32 v3, v1
	;; [unrolled: 1-line block ×3, first 2 shown]
	s_ashr_i32 s31, s30, 31
	s_ashr_i32 s15, s29, 31
	s_mov_b32 s14, s29
	v_lshl_add_u64 v[8:9], s[36:37], 0, v[0:1]
	v_lshl_add_u64 v[2:3], s[38:39], 0, v[2:3]
	;; [unrolled: 1-line block ×3, first 2 shown]
	s_lshl_b64 s[12:13], s[30:31], 2
	s_lshl_b64 s[14:15], s[14:15], 3
	s_mov_b32 s4, s28
.LBB8_36:                               ; =>This Inner Loop Header: Depth=1
	global_load_dwordx2 v[4:5], v[2:3], off
	global_load_dword v12, v[0:1], off
	s_add_i32 s4, s4, -1
	v_lshl_add_u64 v[0:1], v[0:1], 0, s[12:13]
	v_lshl_add_u64 v[2:3], v[2:3], 0, s[14:15]
	s_cmp_lg_u32 s4, 0
	s_waitcnt vmcnt(0)
	v_pk_fma_f32 v[6:7], v[12:13], v[4:5], v[6:7] op_sel_hi:[0,1,1]
	global_store_dwordx2 v[8:9], v[6:7], off
	s_cbranch_scc1 .LBB8_36
.LBB8_37:
	v_add_u32_e32 v10, 0x100, v10
	s_or_b64 exec, exec, s[60:61]
	v_cmp_gt_i32_e32 vcc, s66, v10
	s_and_saveexec_b64 s[60:61], vcc
	s_cbranch_execz .LBB8_3
.LBB8_38:
	s_and_b64 vcc, exec, s[0:1]
	s_cbranch_vccnz .LBB8_44
; %bb.39:
	v_mov_b32_e32 v4, 0
	s_andn2_b64 vcc, exec, s[2:3]
	v_mov_b32_e32 v2, 0
	v_mov_b32_e32 v0, 0
	s_cbranch_vccnz .LBB8_48
; %bb.40:
	s_add_i32 s31, s65, 1
	s_cmp_eq_u32 s64, 2
	s_cbranch_scc1 .LBB8_45
; %bb.41:
	s_and_b32 s4, s31, 28
	v_mov_b32_e32 v0, 0
	s_mov_b32 s67, 0
	s_mov_b64 s[62:63], s[58:59]
	v_mov_b32_e32 v6, v10
	v_mov_b32_e32 v2, 0
	;; [unrolled: 1-line block ×3, first 2 shown]
.LBB8_42:                               ; =>This Inner Loop Header: Depth=1
	s_load_dwordx8 s[12:19], s[62:63], 0x0
	s_load_dwordx4 s[44:47], s[62:63], 0x20
	s_load_dwordx4 s[48:51], s[62:63], 0xe0
	s_load_dwordx8 s[20:27], s[62:63], 0xc0
	s_add_i32 s67, s67, 4
	s_waitcnt lgkmcnt(0)
	v_mul_hi_u32 v1, s13, v6
	v_add_u32_e32 v1, v6, v1
	v_lshrrev_b32_e32 v1, s14, v1
	v_mul_hi_u32 v5, s16, v1
	v_add_u32_e32 v5, v1, v5
	v_lshrrev_b32_e32 v5, s17, v5
	v_mul_lo_u32 v3, v1, s12
	v_mul_lo_u32 v8, v5, s15
	v_mul_hi_u32 v9, s19, v5
	v_sub_u32_e32 v3, v6, v3
	v_sub_u32_e32 v1, v1, v8
	v_add_u32_e32 v8, v5, v9
	v_mul_lo_u32 v6, v3, s20
	v_mul_lo_u32 v7, v3, s22
	;; [unrolled: 1-line block ×6, first 2 shown]
	v_lshrrev_b32_e32 v8, s44, v8
	v_add3_u32 v1, v3, v2, v1
	v_add3_u32 v2, v7, v4, v11
	v_mul_hi_u32 v4, s46, v8
	v_add_u32_e32 v4, v8, v4
	v_add3_u32 v0, v6, v0, v9
	v_lshrrev_b32_e32 v6, s47, v4
	v_mul_lo_u32 v3, v8, s18
	v_mul_lo_u32 v4, v6, s45
	s_add_u32 s62, s62, 48
	v_sub_u32_e32 v3, v5, v3
	v_sub_u32_e32 v4, v8, v4
	s_addc_u32 s63, s63, 0
	v_mul_lo_u32 v5, v3, s26
	v_mul_lo_u32 v7, v3, s27
	;; [unrolled: 1-line block ×6, first 2 shown]
	s_cmp_eq_u32 s4, s67
	v_add3_u32 v0, v5, v0, v8
	v_add3_u32 v4, v3, v2, v4
	;; [unrolled: 1-line block ×3, first 2 shown]
	s_cbranch_scc0 .LBB8_42
; %bb.43:
	v_mov_b32_e32 v1, v4
	s_and_b32 s14, s31, 3
	s_cmp_eq_u32 s14, 0
	s_cbranch_scc0 .LBB8_46
	s_branch .LBB8_48
.LBB8_44:
                                        ; implicit-def: $vgpr4
                                        ; implicit-def: $vgpr2
                                        ; implicit-def: $vgpr0
	s_branch .LBB8_49
.LBB8_45:
	v_mov_b32_e32 v2, 0
	s_mov_b32 s4, 0
	v_mov_b32_e32 v1, v2
                                        ; implicit-def: $vgpr4
	v_mov_b32_e32 v6, v10
	v_mov_b32_e32 v0, v2
	s_and_b32 s14, s31, 3
	s_cmp_eq_u32 s14, 0
	s_cbranch_scc1 .LBB8_48
.LBB8_46:
	s_mul_i32 s4, s4, 12
	s_add_u32 s4, s11, s4
	s_addc_u32 s13, s33, 0
	s_add_u32 s12, s4, 4
	s_addc_u32 s13, s13, 0
.LBB8_47:                               ; =>This Inner Loop Header: Depth=1
	s_load_dwordx2 s[16:17], s[12:13], 0x0
	s_load_dword s4, s[12:13], 0x8
	s_load_dwordx2 s[18:19], s[12:13], 0xc0
	s_load_dword s15, s[12:13], 0xc8
	v_mov_b32_e32 v4, v1
	s_waitcnt lgkmcnt(0)
	v_mul_hi_u32 v1, s17, v6
	v_add_u32_e32 v1, v6, v1
	v_lshrrev_b32_e32 v1, s4, v1
	v_mul_lo_u32 v3, v1, s16
	s_add_u32 s12, s12, 12
	v_sub_u32_e32 v3, v6, v3
	s_addc_u32 s13, s13, 0
	s_add_i32 s14, s14, -1
	v_mov_b32_e32 v6, v1
	v_mad_u64_u32 v[0:1], s[16:17], v3, s18, v[0:1]
	v_mad_u64_u32 v[4:5], s[16:17], v3, s15, v[4:5]
	s_cmp_lg_u32 s14, 0
	v_mad_u64_u32 v[2:3], s[16:17], v3, s19, v[2:3]
	v_mov_b32_e32 v1, v4
	s_cbranch_scc1 .LBB8_47
.LBB8_48:
	s_cbranch_execnz .LBB8_51
.LBB8_49:
	v_mul_hi_u32 v0, s6, v10
	v_add_u32_e32 v0, v10, v0
	v_lshrrev_b32_e32 v1, s7, v0
	v_mul_lo_u32 v0, v1, s5
	v_sub_u32_e32 v2, v10, v0
	v_mul_lo_u32 v0, v2, s40
	v_mul_lo_u32 v4, v2, s42
	s_andn2_b64 vcc, exec, s[56:57]
	v_mul_lo_u32 v2, v2, s41
	s_cbranch_vccnz .LBB8_51
; %bb.50:
	v_mul_hi_u32 v3, s9, v1
	v_add_u32_e32 v3, v1, v3
	v_lshrrev_b32_e32 v3, s10, v3
	v_mul_lo_u32 v3, v3, s8
	v_sub_u32_e32 v5, v1, v3
	v_mad_u64_u32 v[0:1], s[12:13], v5, s43, v[0:1]
	v_mad_u64_u32 v[2:3], s[12:13], v5, s54, v[2:3]
	;; [unrolled: 1-line block ×3, first 2 shown]
.LBB8_51:
	s_andn2_b64 vcc, exec, s[52:53]
	s_cbranch_vccnz .LBB8_54
; %bb.52:
	s_waitcnt lgkmcnt(0)
	global_load_dwordx2 v[6:7], v0, s[36:37]
	v_mov_b32_e32 v1, 0
	v_mov_b32_e32 v3, v1
	;; [unrolled: 1-line block ×3, first 2 shown]
	s_ashr_i32 s31, s30, 31
	s_ashr_i32 s15, s29, 31
	s_mov_b32 s14, s29
	v_lshl_add_u64 v[8:9], s[36:37], 0, v[0:1]
	v_lshl_add_u64 v[2:3], s[38:39], 0, v[2:3]
	;; [unrolled: 1-line block ×3, first 2 shown]
	s_lshl_b64 s[12:13], s[30:31], 2
	s_lshl_b64 s[14:15], s[14:15], 3
	s_mov_b32 s4, s28
.LBB8_53:                               ; =>This Inner Loop Header: Depth=1
	global_load_dwordx2 v[4:5], v[2:3], off
	global_load_dword v12, v[0:1], off
	s_add_i32 s4, s4, -1
	v_lshl_add_u64 v[0:1], v[0:1], 0, s[12:13]
	v_lshl_add_u64 v[2:3], v[2:3], 0, s[14:15]
	s_cmp_lg_u32 s4, 0
	s_waitcnt vmcnt(0)
	v_pk_fma_f32 v[6:7], v[12:13], v[4:5], v[6:7] op_sel_hi:[0,1,1]
	global_store_dwordx2 v[8:9], v[6:7], off
	s_cbranch_scc1 .LBB8_53
.LBB8_54:
	v_add_u32_e32 v10, 0x100, v10
	s_or_b64 exec, exec, s[60:61]
	v_cmp_gt_i32_e32 vcc, s66, v10
	s_and_saveexec_b64 s[12:13], vcc
	s_cbranch_execz .LBB8_71
.LBB8_55:
	s_and_b64 vcc, exec, s[0:1]
	s_cbranch_vccnz .LBB8_61
; %bb.56:
	v_mov_b32_e32 v4, 0
	s_andn2_b64 vcc, exec, s[2:3]
	v_mov_b32_e32 v2, 0
	v_mov_b32_e32 v0, 0
	s_cbranch_vccnz .LBB8_65
; %bb.57:
	s_add_i32 s65, s65, 1
	s_cmp_eq_u32 s64, 2
	s_cbranch_scc1 .LBB8_62
; %bb.58:
	s_and_b32 s4, s65, 28
	v_mov_b32_e32 v0, 0
	s_mov_b32 s31, 0
	v_mov_b32_e32 v6, v10
	v_mov_b32_e32 v2, 0
	;; [unrolled: 1-line block ×3, first 2 shown]
.LBB8_59:                               ; =>This Inner Loop Header: Depth=1
	s_load_dwordx8 s[12:19], s[58:59], 0x0
	s_load_dwordx4 s[0:3], s[58:59], 0x20
	s_load_dwordx4 s[44:47], s[58:59], 0xe0
	s_load_dwordx8 s[20:27], s[58:59], 0xc0
	s_add_i32 s31, s31, 4
	s_waitcnt lgkmcnt(0)
	v_mul_hi_u32 v1, s13, v6
	v_add_u32_e32 v1, v6, v1
	v_lshrrev_b32_e32 v1, s14, v1
	v_mul_hi_u32 v5, s16, v1
	v_add_u32_e32 v5, v1, v5
	v_lshrrev_b32_e32 v5, s17, v5
	v_mul_lo_u32 v3, v1, s12
	v_mul_lo_u32 v8, v5, s15
	v_mul_hi_u32 v9, s19, v5
	v_sub_u32_e32 v3, v6, v3
	v_sub_u32_e32 v1, v1, v8
	v_add_u32_e32 v8, v5, v9
	v_mul_lo_u32 v6, v3, s20
	v_mul_lo_u32 v7, v3, s22
	;; [unrolled: 1-line block ×6, first 2 shown]
	v_lshrrev_b32_e32 v8, s0, v8
	v_add3_u32 v1, v3, v2, v1
	v_add3_u32 v2, v7, v4, v11
	v_mul_hi_u32 v4, s2, v8
	v_add_u32_e32 v4, v8, v4
	v_add3_u32 v0, v6, v0, v9
	v_lshrrev_b32_e32 v6, s3, v4
	v_mul_lo_u32 v3, v8, s18
	v_mul_lo_u32 v4, v6, s1
	s_add_u32 s58, s58, 48
	v_sub_u32_e32 v3, v5, v3
	v_sub_u32_e32 v4, v8, v4
	s_addc_u32 s59, s59, 0
	v_mul_lo_u32 v5, v3, s26
	v_mul_lo_u32 v7, v3, s27
	;; [unrolled: 1-line block ×6, first 2 shown]
	s_cmp_eq_u32 s4, s31
	v_add3_u32 v0, v5, v0, v8
	v_add3_u32 v4, v3, v2, v4
	;; [unrolled: 1-line block ×3, first 2 shown]
	s_cbranch_scc0 .LBB8_59
; %bb.60:
	v_mov_b32_e32 v1, v4
	s_and_b32 s2, s65, 3
	s_cmp_eq_u32 s2, 0
	s_cbranch_scc0 .LBB8_63
	s_branch .LBB8_65
.LBB8_61:
                                        ; implicit-def: $vgpr4
                                        ; implicit-def: $vgpr2
                                        ; implicit-def: $vgpr0
	s_branch .LBB8_66
.LBB8_62:
	v_mov_b32_e32 v2, 0
	s_mov_b32 s4, 0
	v_mov_b32_e32 v1, v2
                                        ; implicit-def: $vgpr4
	v_mov_b32_e32 v6, v10
	v_mov_b32_e32 v0, v2
	s_and_b32 s2, s65, 3
	s_cmp_eq_u32 s2, 0
	s_cbranch_scc1 .LBB8_65
.LBB8_63:
	s_mul_i32 s0, s4, 12
	s_add_u32 s0, s11, s0
	s_addc_u32 s1, s33, 0
	s_add_u32 s0, s0, 4
	s_addc_u32 s1, s1, 0
.LBB8_64:                               ; =>This Inner Loop Header: Depth=1
	s_load_dwordx2 s[12:13], s[0:1], 0x0
	s_load_dword s3, s[0:1], 0x8
	s_load_dwordx2 s[14:15], s[0:1], 0xc0
	s_load_dword s4, s[0:1], 0xc8
	v_mov_b32_e32 v4, v1
	s_waitcnt lgkmcnt(0)
	v_mul_hi_u32 v1, s13, v6
	v_add_u32_e32 v1, v6, v1
	v_lshrrev_b32_e32 v1, s3, v1
	v_mul_lo_u32 v3, v1, s12
	s_add_u32 s0, s0, 12
	v_sub_u32_e32 v3, v6, v3
	s_addc_u32 s1, s1, 0
	s_add_i32 s2, s2, -1
	v_mov_b32_e32 v6, v1
	v_mad_u64_u32 v[0:1], s[12:13], v3, s14, v[0:1]
	v_mad_u64_u32 v[4:5], s[12:13], v3, s4, v[4:5]
	s_cmp_lg_u32 s2, 0
	v_mad_u64_u32 v[2:3], s[12:13], v3, s15, v[2:3]
	v_mov_b32_e32 v1, v4
	s_cbranch_scc1 .LBB8_64
.LBB8_65:
	s_cbranch_execnz .LBB8_68
.LBB8_66:
	v_mul_hi_u32 v0, s6, v10
	v_add_u32_e32 v0, v10, v0
	v_lshrrev_b32_e32 v1, s7, v0
	v_mul_lo_u32 v0, v1, s5
	v_sub_u32_e32 v2, v10, v0
	v_mul_lo_u32 v0, v2, s40
	v_mul_lo_u32 v4, v2, s42
	s_andn2_b64 vcc, exec, s[56:57]
	v_mul_lo_u32 v2, v2, s41
	s_cbranch_vccnz .LBB8_68
; %bb.67:
	v_mul_hi_u32 v3, s9, v1
	v_add_u32_e32 v3, v1, v3
	v_lshrrev_b32_e32 v3, s10, v3
	v_mul_lo_u32 v3, v3, s8
	v_sub_u32_e32 v5, v1, v3
	v_mad_u64_u32 v[0:1], s[0:1], v5, s43, v[0:1]
	v_mad_u64_u32 v[2:3], s[0:1], v5, s54, v[2:3]
	;; [unrolled: 1-line block ×3, first 2 shown]
.LBB8_68:
	s_andn2_b64 vcc, exec, s[52:53]
	s_cbranch_vccnz .LBB8_71
; %bb.69:
	s_waitcnt lgkmcnt(0)
	global_load_dwordx2 v[6:7], v0, s[36:37]
	v_mov_b32_e32 v1, 0
	v_mov_b32_e32 v3, v1
	;; [unrolled: 1-line block ×3, first 2 shown]
	s_ashr_i32 s31, s30, 31
	s_ashr_i32 s3, s29, 31
	s_mov_b32 s2, s29
	v_lshl_add_u64 v[8:9], s[36:37], 0, v[0:1]
	v_lshl_add_u64 v[2:3], s[38:39], 0, v[2:3]
	;; [unrolled: 1-line block ×3, first 2 shown]
	s_lshl_b64 s[0:1], s[30:31], 2
	s_lshl_b64 s[2:3], s[2:3], 3
.LBB8_70:                               ; =>This Inner Loop Header: Depth=1
	global_load_dwordx2 v[4:5], v[2:3], off
	global_load_dword v10, v[0:1], off
	s_add_i32 s28, s28, -1
	v_lshl_add_u64 v[0:1], v[0:1], 0, s[0:1]
	v_lshl_add_u64 v[2:3], v[2:3], 0, s[2:3]
	s_cmp_lg_u32 s28, 0
	s_waitcnt vmcnt(0)
	v_pk_fma_f32 v[6:7], v[10:11], v[4:5], v[6:7] op_sel_hi:[0,1,1]
	global_store_dwordx2 v[8:9], v[6:7], off
	s_cbranch_scc1 .LBB8_70
.LBB8_71:
	s_endpgm
	.section	.rodata,"a",@progbits
	.p2align	6, 0x0
	.amdhsa_kernel _ZN2at6native12_GLOBAL__N_116_elemwise_kernelILi256ELi4EZNS1_43_compute_linear_combination_internal_kernelIN3c107complexIfEEEEvRNS_14TensorIteratorEiiiEUliE_EEviT1_
		.amdhsa_group_segment_fixed_size 0
		.amdhsa_private_segment_fixed_size 0
		.amdhsa_kernarg_size 440
		.amdhsa_user_sgpr_count 2
		.amdhsa_user_sgpr_dispatch_ptr 0
		.amdhsa_user_sgpr_queue_ptr 0
		.amdhsa_user_sgpr_kernarg_segment_ptr 1
		.amdhsa_user_sgpr_dispatch_id 0
		.amdhsa_user_sgpr_kernarg_preload_length 0
		.amdhsa_user_sgpr_kernarg_preload_offset 0
		.amdhsa_user_sgpr_private_segment_size 0
		.amdhsa_uses_dynamic_stack 0
		.amdhsa_enable_private_segment 0
		.amdhsa_system_sgpr_workgroup_id_x 1
		.amdhsa_system_sgpr_workgroup_id_y 0
		.amdhsa_system_sgpr_workgroup_id_z 0
		.amdhsa_system_sgpr_workgroup_info 0
		.amdhsa_system_vgpr_workitem_id 0
		.amdhsa_next_free_vgpr 14
		.amdhsa_next_free_sgpr 68
		.amdhsa_accum_offset 16
		.amdhsa_reserve_vcc 1
		.amdhsa_float_round_mode_32 0
		.amdhsa_float_round_mode_16_64 0
		.amdhsa_float_denorm_mode_32 3
		.amdhsa_float_denorm_mode_16_64 3
		.amdhsa_dx10_clamp 1
		.amdhsa_ieee_mode 1
		.amdhsa_fp16_overflow 0
		.amdhsa_tg_split 0
		.amdhsa_exception_fp_ieee_invalid_op 0
		.amdhsa_exception_fp_denorm_src 0
		.amdhsa_exception_fp_ieee_div_zero 0
		.amdhsa_exception_fp_ieee_overflow 0
		.amdhsa_exception_fp_ieee_underflow 0
		.amdhsa_exception_fp_ieee_inexact 0
		.amdhsa_exception_int_div_zero 0
	.end_amdhsa_kernel
	.section	.text._ZN2at6native12_GLOBAL__N_116_elemwise_kernelILi256ELi4EZNS1_43_compute_linear_combination_internal_kernelIN3c107complexIfEEEEvRNS_14TensorIteratorEiiiEUliE_EEviT1_,"axG",@progbits,_ZN2at6native12_GLOBAL__N_116_elemwise_kernelILi256ELi4EZNS1_43_compute_linear_combination_internal_kernelIN3c107complexIfEEEEvRNS_14TensorIteratorEiiiEUliE_EEviT1_,comdat
.Lfunc_end8:
	.size	_ZN2at6native12_GLOBAL__N_116_elemwise_kernelILi256ELi4EZNS1_43_compute_linear_combination_internal_kernelIN3c107complexIfEEEEvRNS_14TensorIteratorEiiiEUliE_EEviT1_, .Lfunc_end8-_ZN2at6native12_GLOBAL__N_116_elemwise_kernelILi256ELi4EZNS1_43_compute_linear_combination_internal_kernelIN3c107complexIfEEEEvRNS_14TensorIteratorEiiiEUliE_EEviT1_
                                        ; -- End function
	.set _ZN2at6native12_GLOBAL__N_116_elemwise_kernelILi256ELi4EZNS1_43_compute_linear_combination_internal_kernelIN3c107complexIfEEEEvRNS_14TensorIteratorEiiiEUliE_EEviT1_.num_vgpr, 14
	.set _ZN2at6native12_GLOBAL__N_116_elemwise_kernelILi256ELi4EZNS1_43_compute_linear_combination_internal_kernelIN3c107complexIfEEEEvRNS_14TensorIteratorEiiiEUliE_EEviT1_.num_agpr, 0
	.set _ZN2at6native12_GLOBAL__N_116_elemwise_kernelILi256ELi4EZNS1_43_compute_linear_combination_internal_kernelIN3c107complexIfEEEEvRNS_14TensorIteratorEiiiEUliE_EEviT1_.numbered_sgpr, 68
	.set _ZN2at6native12_GLOBAL__N_116_elemwise_kernelILi256ELi4EZNS1_43_compute_linear_combination_internal_kernelIN3c107complexIfEEEEvRNS_14TensorIteratorEiiiEUliE_EEviT1_.num_named_barrier, 0
	.set _ZN2at6native12_GLOBAL__N_116_elemwise_kernelILi256ELi4EZNS1_43_compute_linear_combination_internal_kernelIN3c107complexIfEEEEvRNS_14TensorIteratorEiiiEUliE_EEviT1_.private_seg_size, 0
	.set _ZN2at6native12_GLOBAL__N_116_elemwise_kernelILi256ELi4EZNS1_43_compute_linear_combination_internal_kernelIN3c107complexIfEEEEvRNS_14TensorIteratorEiiiEUliE_EEviT1_.uses_vcc, 1
	.set _ZN2at6native12_GLOBAL__N_116_elemwise_kernelILi256ELi4EZNS1_43_compute_linear_combination_internal_kernelIN3c107complexIfEEEEvRNS_14TensorIteratorEiiiEUliE_EEviT1_.uses_flat_scratch, 0
	.set _ZN2at6native12_GLOBAL__N_116_elemwise_kernelILi256ELi4EZNS1_43_compute_linear_combination_internal_kernelIN3c107complexIfEEEEvRNS_14TensorIteratorEiiiEUliE_EEviT1_.has_dyn_sized_stack, 0
	.set _ZN2at6native12_GLOBAL__N_116_elemwise_kernelILi256ELi4EZNS1_43_compute_linear_combination_internal_kernelIN3c107complexIfEEEEvRNS_14TensorIteratorEiiiEUliE_EEviT1_.has_recursion, 0
	.set _ZN2at6native12_GLOBAL__N_116_elemwise_kernelILi256ELi4EZNS1_43_compute_linear_combination_internal_kernelIN3c107complexIfEEEEvRNS_14TensorIteratorEiiiEUliE_EEviT1_.has_indirect_call, 0
	.section	.AMDGPU.csdata,"",@progbits
; Kernel info:
; codeLenInByte = 3632
; TotalNumSgprs: 74
; NumVgprs: 14
; NumAgprs: 0
; TotalNumVgprs: 14
; ScratchSize: 0
; MemoryBound: 0
; FloatMode: 240
; IeeeMode: 1
; LDSByteSize: 0 bytes/workgroup (compile time only)
; SGPRBlocks: 9
; VGPRBlocks: 1
; NumSGPRsForWavesPerEU: 74
; NumVGPRsForWavesPerEU: 14
; AccumOffset: 16
; Occupancy: 8
; WaveLimiterHint : 1
; COMPUTE_PGM_RSRC2:SCRATCH_EN: 0
; COMPUTE_PGM_RSRC2:USER_SGPR: 2
; COMPUTE_PGM_RSRC2:TRAP_HANDLER: 0
; COMPUTE_PGM_RSRC2:TGID_X_EN: 1
; COMPUTE_PGM_RSRC2:TGID_Y_EN: 0
; COMPUTE_PGM_RSRC2:TGID_Z_EN: 0
; COMPUTE_PGM_RSRC2:TIDIG_COMP_CNT: 0
; COMPUTE_PGM_RSRC3_GFX90A:ACCUM_OFFSET: 3
; COMPUTE_PGM_RSRC3_GFX90A:TG_SPLIT: 0
	.section	.text._ZN2at6native12_GLOBAL__N_116_elemwise_kernelILi256ELi4EZNS1_43_compute_linear_combination_internal_kernelIN3c104HalfEEEvRNS_14TensorIteratorEiiiEUliE_EEviT1_,"axG",@progbits,_ZN2at6native12_GLOBAL__N_116_elemwise_kernelILi256ELi4EZNS1_43_compute_linear_combination_internal_kernelIN3c104HalfEEEvRNS_14TensorIteratorEiiiEUliE_EEviT1_,comdat
	.globl	_ZN2at6native12_GLOBAL__N_116_elemwise_kernelILi256ELi4EZNS1_43_compute_linear_combination_internal_kernelIN3c104HalfEEEvRNS_14TensorIteratorEiiiEUliE_EEviT1_ ; -- Begin function _ZN2at6native12_GLOBAL__N_116_elemwise_kernelILi256ELi4EZNS1_43_compute_linear_combination_internal_kernelIN3c104HalfEEEvRNS_14TensorIteratorEiiiEUliE_EEviT1_
	.p2align	8
	.type	_ZN2at6native12_GLOBAL__N_116_elemwise_kernelILi256ELi4EZNS1_43_compute_linear_combination_internal_kernelIN3c104HalfEEEvRNS_14TensorIteratorEiiiEUliE_EEviT1_,@function
_ZN2at6native12_GLOBAL__N_116_elemwise_kernelILi256ELi4EZNS1_43_compute_linear_combination_internal_kernelIN3c104HalfEEEvRNS_14TensorIteratorEiiiEUliE_EEviT1_: ; @_ZN2at6native12_GLOBAL__N_116_elemwise_kernelILi256ELi4EZNS1_43_compute_linear_combination_internal_kernelIN3c104HalfEEEvRNS_14TensorIteratorEiiiEUliE_EEviT1_
; %bb.0:
	s_load_dword s66, s[0:1], 0x0
	s_load_dwordx8 s[4:11], s[0:1], 0x8
	s_load_dwordx4 s[40:43], s[0:1], 0xcc
	s_load_dwordx2 s[54:55], s[0:1], 0xdc
	s_load_dwordx4 s[28:31], s[0:1], 0x1a8
	v_lshl_or_b32 v8, s2, 10, v0
	s_waitcnt lgkmcnt(0)
	s_add_u32 s11, s0, 8
	s_load_dwordx2 s[34:35], s[0:1], 0x1a0
	s_load_dwordx4 s[36:39], s[0:1], 0x190
	v_sub_co_u32_e64 v0, s[2:3], s4, 1
	s_nop 0
	v_readfirstlane_b32 s64, v0
	s_addc_u32 s33, s1, 0
	s_xor_b64 s[2:3], s[2:3], -1
	s_or_b32 s58, s0, 12
	s_min_u32 s65, s64, 15
	s_mov_b32 s59, s1
	s_cmp_gt_u32 s4, 1
	v_cmp_lt_u32_e64 s[0:1], 1, v0
	s_cselect_b64 s[56:57], -1, 0
	s_cmp_gt_i32 s28, 0
	v_cndmask_b32_e64 v0, 0, 1, s[0:1]
	s_mov_b64 s[12:13], -1
	s_cselect_b64 s[52:53], -1, 0
	v_cmp_gt_i32_e32 vcc, s66, v8
	v_cmp_ne_u32_e64 s[0:1], 1, v0
	s_and_saveexec_b64 s[60:61], vcc
	s_cbranch_execnz .LBB9_4
; %bb.1:
	s_or_b64 exec, exec, s[60:61]
	v_cmp_gt_i32_e32 vcc, s66, v8
	s_and_saveexec_b64 s[60:61], vcc
	s_cbranch_execnz .LBB9_21
.LBB9_2:
	s_or_b64 exec, exec, s[60:61]
	v_cmp_gt_i32_e32 vcc, s66, v8
	s_and_saveexec_b64 s[60:61], vcc
	s_cbranch_execnz .LBB9_38
.LBB9_3:
	s_or_b64 exec, exec, s[60:61]
	v_cmp_gt_i32_e32 vcc, s66, v8
	s_and_saveexec_b64 s[12:13], vcc
	s_cbranch_execnz .LBB9_55
	s_branch .LBB9_71
.LBB9_4:
	s_and_b64 vcc, exec, s[0:1]
                                        ; implicit-def: $vgpr4
                                        ; implicit-def: $vgpr2
                                        ; implicit-def: $vgpr0
	s_cbranch_vccnz .LBB9_14
; %bb.5:
	v_mov_b32_e32 v4, 0
	s_andn2_b64 vcc, exec, s[2:3]
	v_mov_b32_e32 v2, 0
	v_mov_b32_e32 v0, 0
	s_cbranch_vccnz .LBB9_13
; %bb.6:
	s_add_i32 s31, s65, 1
	s_cmp_eq_u32 s64, 2
	s_cbranch_scc1 .LBB9_10
; %bb.7:
	s_and_b32 s4, s31, 28
	v_mov_b32_e32 v0, 0
	s_mov_b32 s67, 0
	s_mov_b64 s[62:63], s[58:59]
	v_mov_b32_e32 v6, v8
	v_mov_b32_e32 v2, 0
	;; [unrolled: 1-line block ×3, first 2 shown]
.LBB9_8:                                ; =>This Inner Loop Header: Depth=1
	s_load_dwordx8 s[12:19], s[62:63], 0x0
	s_load_dwordx4 s[44:47], s[62:63], 0x20
	s_load_dwordx4 s[48:51], s[62:63], 0xe0
	s_load_dwordx8 s[20:27], s[62:63], 0xc0
	s_add_i32 s67, s67, 4
	s_waitcnt lgkmcnt(0)
	v_mul_hi_u32 v1, s13, v6
	v_add_u32_e32 v1, v6, v1
	v_lshrrev_b32_e32 v1, s14, v1
	v_mul_hi_u32 v5, s16, v1
	v_add_u32_e32 v5, v1, v5
	v_lshrrev_b32_e32 v5, s17, v5
	v_mul_lo_u32 v3, v1, s12
	v_mul_lo_u32 v9, v5, s15
	v_mul_hi_u32 v10, s19, v5
	v_sub_u32_e32 v3, v6, v3
	v_sub_u32_e32 v1, v1, v9
	v_add_u32_e32 v9, v5, v10
	v_mul_lo_u32 v6, v3, s20
	v_mul_lo_u32 v7, v3, s22
	v_mul_lo_u32 v3, v3, s21
	v_mul_lo_u32 v10, v1, s23
	v_mul_lo_u32 v11, v1, s25
	v_mul_lo_u32 v1, v1, s24
	v_lshrrev_b32_e32 v9, s44, v9
	v_add3_u32 v1, v3, v2, v1
	v_add3_u32 v2, v7, v4, v11
	v_mul_hi_u32 v4, s46, v9
	v_add_u32_e32 v4, v9, v4
	v_add3_u32 v0, v6, v0, v10
	v_lshrrev_b32_e32 v6, s47, v4
	v_mul_lo_u32 v3, v9, s18
	v_mul_lo_u32 v4, v6, s45
	s_add_u32 s62, s62, 48
	v_sub_u32_e32 v3, v5, v3
	v_sub_u32_e32 v4, v9, v4
	s_addc_u32 s63, s63, 0
	v_mul_lo_u32 v5, v3, s26
	v_mul_lo_u32 v7, v3, s27
	;; [unrolled: 1-line block ×6, first 2 shown]
	s_cmp_lg_u32 s4, s67
	v_add3_u32 v0, v5, v0, v9
	v_add3_u32 v4, v3, v2, v4
	v_add3_u32 v2, v7, v1, v10
	s_cbranch_scc1 .LBB9_8
; %bb.9:
	v_mov_b32_e32 v1, v4
	s_and_b32 s14, s31, 3
	s_cmp_eq_u32 s14, 0
	s_cbranch_scc0 .LBB9_11
	s_branch .LBB9_13
.LBB9_10:
	v_mov_b32_e32 v2, 0
	s_mov_b32 s4, 0
	v_mov_b32_e32 v1, v2
                                        ; implicit-def: $vgpr4
	v_mov_b32_e32 v6, v8
	v_mov_b32_e32 v0, v2
	s_and_b32 s14, s31, 3
	s_cmp_eq_u32 s14, 0
	s_cbranch_scc1 .LBB9_13
.LBB9_11:
	s_mul_i32 s4, s4, 12
	s_add_u32 s4, s11, s4
	s_addc_u32 s13, s33, 0
	s_add_u32 s12, s4, 4
	s_addc_u32 s13, s13, 0
.LBB9_12:                               ; =>This Inner Loop Header: Depth=1
	s_load_dwordx2 s[16:17], s[12:13], 0x0
	s_load_dword s4, s[12:13], 0x8
	s_load_dwordx2 s[18:19], s[12:13], 0xc0
	s_load_dword s15, s[12:13], 0xc8
	v_mov_b32_e32 v4, v1
	s_waitcnt lgkmcnt(0)
	v_mul_hi_u32 v1, s17, v6
	v_add_u32_e32 v1, v6, v1
	v_lshrrev_b32_e32 v1, s4, v1
	v_mul_lo_u32 v3, v1, s16
	s_add_u32 s12, s12, 12
	v_sub_u32_e32 v3, v6, v3
	s_addc_u32 s13, s13, 0
	s_add_i32 s14, s14, -1
	v_mov_b32_e32 v6, v1
	v_mad_u64_u32 v[0:1], s[16:17], v3, s18, v[0:1]
	v_mad_u64_u32 v[4:5], s[16:17], v3, s15, v[4:5]
	s_cmp_lg_u32 s14, 0
	v_mad_u64_u32 v[2:3], s[16:17], v3, s19, v[2:3]
	v_mov_b32_e32 v1, v4
	s_cbranch_scc1 .LBB9_12
.LBB9_13:
	s_mov_b64 s[12:13], 0
.LBB9_14:
	s_andn2_b64 vcc, exec, s[12:13]
	s_cbranch_vccnz .LBB9_17
; %bb.15:
	v_mul_hi_u32 v0, s6, v8
	v_add_u32_e32 v0, v8, v0
	v_lshrrev_b32_e32 v1, s7, v0
	v_mul_lo_u32 v0, v1, s5
	v_sub_u32_e32 v2, v8, v0
	v_mul_lo_u32 v0, v2, s40
	v_mul_lo_u32 v4, v2, s42
	s_andn2_b64 vcc, exec, s[56:57]
	v_mul_lo_u32 v2, v2, s41
	s_cbranch_vccnz .LBB9_17
; %bb.16:
	v_mul_hi_u32 v3, s9, v1
	v_add_u32_e32 v3, v1, v3
	v_lshrrev_b32_e32 v3, s10, v3
	v_mul_lo_u32 v3, v3, s8
	v_sub_u32_e32 v5, v1, v3
	v_mad_u64_u32 v[0:1], s[12:13], v5, s43, v[0:1]
	v_mad_u64_u32 v[2:3], s[12:13], v5, s54, v[2:3]
	;; [unrolled: 1-line block ×3, first 2 shown]
.LBB9_17:
	s_andn2_b64 vcc, exec, s[52:53]
	s_cbranch_vccnz .LBB9_20
; %bb.18:
	s_waitcnt lgkmcnt(0)
	global_load_ushort v9, v0, s[36:37]
	v_mov_b32_e32 v1, 0
	v_mov_b32_e32 v3, v1
	;; [unrolled: 1-line block ×3, first 2 shown]
	s_ashr_i32 s31, s30, 31
	s_ashr_i32 s15, s29, 31
	s_mov_b32 s14, s29
	v_lshl_add_u64 v[6:7], s[36:37], 0, v[0:1]
	v_lshl_add_u64 v[2:3], s[38:39], 0, v[2:3]
	;; [unrolled: 1-line block ×3, first 2 shown]
	s_lshl_b64 s[12:13], s[30:31], 1
	s_lshl_b64 s[14:15], s[14:15], 1
	s_mov_b32 s4, s28
.LBB9_19:                               ; =>This Inner Loop Header: Depth=1
	global_load_ushort v4, v[2:3], off
	global_load_ushort v5, v[0:1], off
	s_add_i32 s4, s4, -1
	v_lshl_add_u64 v[0:1], v[0:1], 0, s[12:13]
	v_lshl_add_u64 v[2:3], v[2:3], 0, s[14:15]
	s_cmp_lg_u32 s4, 0
	s_waitcnt vmcnt(0)
	v_fma_f16 v9, v4, v5, v9
	global_store_short v[6:7], v9, off
	s_cbranch_scc1 .LBB9_19
.LBB9_20:
	v_add_u32_e32 v8, 0x100, v8
	s_or_b64 exec, exec, s[60:61]
	v_cmp_gt_i32_e32 vcc, s66, v8
	s_and_saveexec_b64 s[60:61], vcc
	s_cbranch_execz .LBB9_2
.LBB9_21:
	s_and_b64 vcc, exec, s[0:1]
	s_cbranch_vccnz .LBB9_27
; %bb.22:
	v_mov_b32_e32 v4, 0
	s_andn2_b64 vcc, exec, s[2:3]
	v_mov_b32_e32 v2, 0
	v_mov_b32_e32 v0, 0
	s_cbranch_vccnz .LBB9_31
; %bb.23:
	s_add_i32 s31, s65, 1
	s_cmp_eq_u32 s64, 2
	s_cbranch_scc1 .LBB9_28
; %bb.24:
	s_and_b32 s4, s31, 28
	v_mov_b32_e32 v0, 0
	s_mov_b32 s67, 0
	s_mov_b64 s[62:63], s[58:59]
	v_mov_b32_e32 v6, v8
	v_mov_b32_e32 v2, 0
	;; [unrolled: 1-line block ×3, first 2 shown]
.LBB9_25:                               ; =>This Inner Loop Header: Depth=1
	s_load_dwordx8 s[12:19], s[62:63], 0x0
	s_load_dwordx4 s[44:47], s[62:63], 0x20
	s_load_dwordx4 s[48:51], s[62:63], 0xe0
	s_load_dwordx8 s[20:27], s[62:63], 0xc0
	s_add_i32 s67, s67, 4
	s_waitcnt lgkmcnt(0)
	v_mul_hi_u32 v1, s13, v6
	v_add_u32_e32 v1, v6, v1
	v_lshrrev_b32_e32 v1, s14, v1
	v_mul_hi_u32 v5, s16, v1
	v_add_u32_e32 v5, v1, v5
	v_lshrrev_b32_e32 v5, s17, v5
	v_mul_lo_u32 v3, v1, s12
	v_mul_lo_u32 v9, v5, s15
	v_mul_hi_u32 v10, s19, v5
	v_sub_u32_e32 v3, v6, v3
	v_sub_u32_e32 v1, v1, v9
	v_add_u32_e32 v9, v5, v10
	v_mul_lo_u32 v6, v3, s20
	v_mul_lo_u32 v7, v3, s22
	v_mul_lo_u32 v3, v3, s21
	v_mul_lo_u32 v10, v1, s23
	v_mul_lo_u32 v11, v1, s25
	v_mul_lo_u32 v1, v1, s24
	v_lshrrev_b32_e32 v9, s44, v9
	v_add3_u32 v1, v3, v2, v1
	v_add3_u32 v2, v7, v4, v11
	v_mul_hi_u32 v4, s46, v9
	v_add_u32_e32 v4, v9, v4
	v_add3_u32 v0, v6, v0, v10
	v_lshrrev_b32_e32 v6, s47, v4
	v_mul_lo_u32 v3, v9, s18
	v_mul_lo_u32 v4, v6, s45
	s_add_u32 s62, s62, 48
	v_sub_u32_e32 v3, v5, v3
	v_sub_u32_e32 v4, v9, v4
	s_addc_u32 s63, s63, 0
	v_mul_lo_u32 v5, v3, s26
	v_mul_lo_u32 v7, v3, s27
	;; [unrolled: 1-line block ×6, first 2 shown]
	s_cmp_eq_u32 s4, s67
	v_add3_u32 v0, v5, v0, v9
	v_add3_u32 v4, v3, v2, v4
	;; [unrolled: 1-line block ×3, first 2 shown]
	s_cbranch_scc0 .LBB9_25
; %bb.26:
	v_mov_b32_e32 v1, v4
	s_and_b32 s14, s31, 3
	s_cmp_eq_u32 s14, 0
	s_cbranch_scc0 .LBB9_29
	s_branch .LBB9_31
.LBB9_27:
                                        ; implicit-def: $vgpr4
                                        ; implicit-def: $vgpr2
                                        ; implicit-def: $vgpr0
	s_branch .LBB9_32
.LBB9_28:
	v_mov_b32_e32 v2, 0
	s_mov_b32 s4, 0
	v_mov_b32_e32 v1, v2
                                        ; implicit-def: $vgpr4
	v_mov_b32_e32 v6, v8
	v_mov_b32_e32 v0, v2
	s_and_b32 s14, s31, 3
	s_cmp_eq_u32 s14, 0
	s_cbranch_scc1 .LBB9_31
.LBB9_29:
	s_mul_i32 s4, s4, 12
	s_add_u32 s4, s11, s4
	s_addc_u32 s13, s33, 0
	s_add_u32 s12, s4, 4
	s_addc_u32 s13, s13, 0
.LBB9_30:                               ; =>This Inner Loop Header: Depth=1
	s_load_dwordx2 s[16:17], s[12:13], 0x0
	s_load_dword s4, s[12:13], 0x8
	s_load_dwordx2 s[18:19], s[12:13], 0xc0
	s_load_dword s15, s[12:13], 0xc8
	v_mov_b32_e32 v4, v1
	s_waitcnt lgkmcnt(0)
	v_mul_hi_u32 v1, s17, v6
	v_add_u32_e32 v1, v6, v1
	v_lshrrev_b32_e32 v1, s4, v1
	v_mul_lo_u32 v3, v1, s16
	s_add_u32 s12, s12, 12
	v_sub_u32_e32 v3, v6, v3
	s_addc_u32 s13, s13, 0
	s_add_i32 s14, s14, -1
	v_mov_b32_e32 v6, v1
	v_mad_u64_u32 v[0:1], s[16:17], v3, s18, v[0:1]
	v_mad_u64_u32 v[4:5], s[16:17], v3, s15, v[4:5]
	s_cmp_lg_u32 s14, 0
	v_mad_u64_u32 v[2:3], s[16:17], v3, s19, v[2:3]
	v_mov_b32_e32 v1, v4
	s_cbranch_scc1 .LBB9_30
.LBB9_31:
	s_cbranch_execnz .LBB9_34
.LBB9_32:
	v_mul_hi_u32 v0, s6, v8
	v_add_u32_e32 v0, v8, v0
	v_lshrrev_b32_e32 v1, s7, v0
	v_mul_lo_u32 v0, v1, s5
	v_sub_u32_e32 v2, v8, v0
	v_mul_lo_u32 v0, v2, s40
	v_mul_lo_u32 v4, v2, s42
	s_andn2_b64 vcc, exec, s[56:57]
	v_mul_lo_u32 v2, v2, s41
	s_cbranch_vccnz .LBB9_34
; %bb.33:
	v_mul_hi_u32 v3, s9, v1
	v_add_u32_e32 v3, v1, v3
	v_lshrrev_b32_e32 v3, s10, v3
	v_mul_lo_u32 v3, v3, s8
	v_sub_u32_e32 v5, v1, v3
	v_mad_u64_u32 v[0:1], s[12:13], v5, s43, v[0:1]
	v_mad_u64_u32 v[2:3], s[12:13], v5, s54, v[2:3]
	;; [unrolled: 1-line block ×3, first 2 shown]
.LBB9_34:
	s_andn2_b64 vcc, exec, s[52:53]
	s_cbranch_vccnz .LBB9_37
; %bb.35:
	s_waitcnt lgkmcnt(0)
	global_load_ushort v9, v0, s[36:37]
	v_mov_b32_e32 v1, 0
	v_mov_b32_e32 v3, v1
	v_mov_b32_e32 v5, v1
	s_ashr_i32 s31, s30, 31
	s_ashr_i32 s15, s29, 31
	s_mov_b32 s14, s29
	v_lshl_add_u64 v[6:7], s[36:37], 0, v[0:1]
	v_lshl_add_u64 v[2:3], s[38:39], 0, v[2:3]
	;; [unrolled: 1-line block ×3, first 2 shown]
	s_lshl_b64 s[12:13], s[30:31], 1
	s_lshl_b64 s[14:15], s[14:15], 1
	s_mov_b32 s4, s28
.LBB9_36:                               ; =>This Inner Loop Header: Depth=1
	global_load_ushort v4, v[2:3], off
	global_load_ushort v5, v[0:1], off
	s_add_i32 s4, s4, -1
	v_lshl_add_u64 v[0:1], v[0:1], 0, s[12:13]
	v_lshl_add_u64 v[2:3], v[2:3], 0, s[14:15]
	s_cmp_lg_u32 s4, 0
	s_waitcnt vmcnt(0)
	v_fma_f16 v9, v4, v5, v9
	global_store_short v[6:7], v9, off
	s_cbranch_scc1 .LBB9_36
.LBB9_37:
	v_add_u32_e32 v8, 0x100, v8
	s_or_b64 exec, exec, s[60:61]
	v_cmp_gt_i32_e32 vcc, s66, v8
	s_and_saveexec_b64 s[60:61], vcc
	s_cbranch_execz .LBB9_3
.LBB9_38:
	s_and_b64 vcc, exec, s[0:1]
	s_cbranch_vccnz .LBB9_44
; %bb.39:
	v_mov_b32_e32 v4, 0
	s_andn2_b64 vcc, exec, s[2:3]
	v_mov_b32_e32 v2, 0
	v_mov_b32_e32 v0, 0
	s_cbranch_vccnz .LBB9_48
; %bb.40:
	s_add_i32 s31, s65, 1
	s_cmp_eq_u32 s64, 2
	s_cbranch_scc1 .LBB9_45
; %bb.41:
	s_and_b32 s4, s31, 28
	v_mov_b32_e32 v0, 0
	s_mov_b32 s67, 0
	s_mov_b64 s[62:63], s[58:59]
	v_mov_b32_e32 v6, v8
	v_mov_b32_e32 v2, 0
	;; [unrolled: 1-line block ×3, first 2 shown]
.LBB9_42:                               ; =>This Inner Loop Header: Depth=1
	s_load_dwordx8 s[12:19], s[62:63], 0x0
	s_load_dwordx4 s[44:47], s[62:63], 0x20
	s_load_dwordx4 s[48:51], s[62:63], 0xe0
	s_load_dwordx8 s[20:27], s[62:63], 0xc0
	s_add_i32 s67, s67, 4
	s_waitcnt lgkmcnt(0)
	v_mul_hi_u32 v1, s13, v6
	v_add_u32_e32 v1, v6, v1
	v_lshrrev_b32_e32 v1, s14, v1
	v_mul_hi_u32 v5, s16, v1
	v_add_u32_e32 v5, v1, v5
	v_lshrrev_b32_e32 v5, s17, v5
	v_mul_lo_u32 v3, v1, s12
	v_mul_lo_u32 v9, v5, s15
	v_mul_hi_u32 v10, s19, v5
	v_sub_u32_e32 v3, v6, v3
	v_sub_u32_e32 v1, v1, v9
	v_add_u32_e32 v9, v5, v10
	v_mul_lo_u32 v6, v3, s20
	v_mul_lo_u32 v7, v3, s22
	v_mul_lo_u32 v3, v3, s21
	v_mul_lo_u32 v10, v1, s23
	v_mul_lo_u32 v11, v1, s25
	v_mul_lo_u32 v1, v1, s24
	v_lshrrev_b32_e32 v9, s44, v9
	v_add3_u32 v1, v3, v2, v1
	v_add3_u32 v2, v7, v4, v11
	v_mul_hi_u32 v4, s46, v9
	v_add_u32_e32 v4, v9, v4
	v_add3_u32 v0, v6, v0, v10
	v_lshrrev_b32_e32 v6, s47, v4
	v_mul_lo_u32 v3, v9, s18
	v_mul_lo_u32 v4, v6, s45
	s_add_u32 s62, s62, 48
	v_sub_u32_e32 v3, v5, v3
	v_sub_u32_e32 v4, v9, v4
	s_addc_u32 s63, s63, 0
	v_mul_lo_u32 v5, v3, s26
	v_mul_lo_u32 v7, v3, s27
	;; [unrolled: 1-line block ×6, first 2 shown]
	s_cmp_eq_u32 s4, s67
	v_add3_u32 v0, v5, v0, v9
	v_add3_u32 v4, v3, v2, v4
	;; [unrolled: 1-line block ×3, first 2 shown]
	s_cbranch_scc0 .LBB9_42
; %bb.43:
	v_mov_b32_e32 v1, v4
	s_and_b32 s14, s31, 3
	s_cmp_eq_u32 s14, 0
	s_cbranch_scc0 .LBB9_46
	s_branch .LBB9_48
.LBB9_44:
                                        ; implicit-def: $vgpr4
                                        ; implicit-def: $vgpr2
                                        ; implicit-def: $vgpr0
	s_branch .LBB9_49
.LBB9_45:
	v_mov_b32_e32 v2, 0
	s_mov_b32 s4, 0
	v_mov_b32_e32 v1, v2
                                        ; implicit-def: $vgpr4
	v_mov_b32_e32 v6, v8
	v_mov_b32_e32 v0, v2
	s_and_b32 s14, s31, 3
	s_cmp_eq_u32 s14, 0
	s_cbranch_scc1 .LBB9_48
.LBB9_46:
	s_mul_i32 s4, s4, 12
	s_add_u32 s4, s11, s4
	s_addc_u32 s13, s33, 0
	s_add_u32 s12, s4, 4
	s_addc_u32 s13, s13, 0
.LBB9_47:                               ; =>This Inner Loop Header: Depth=1
	s_load_dwordx2 s[16:17], s[12:13], 0x0
	s_load_dword s4, s[12:13], 0x8
	s_load_dwordx2 s[18:19], s[12:13], 0xc0
	s_load_dword s15, s[12:13], 0xc8
	v_mov_b32_e32 v4, v1
	s_waitcnt lgkmcnt(0)
	v_mul_hi_u32 v1, s17, v6
	v_add_u32_e32 v1, v6, v1
	v_lshrrev_b32_e32 v1, s4, v1
	v_mul_lo_u32 v3, v1, s16
	s_add_u32 s12, s12, 12
	v_sub_u32_e32 v3, v6, v3
	s_addc_u32 s13, s13, 0
	s_add_i32 s14, s14, -1
	v_mov_b32_e32 v6, v1
	v_mad_u64_u32 v[0:1], s[16:17], v3, s18, v[0:1]
	v_mad_u64_u32 v[4:5], s[16:17], v3, s15, v[4:5]
	s_cmp_lg_u32 s14, 0
	v_mad_u64_u32 v[2:3], s[16:17], v3, s19, v[2:3]
	v_mov_b32_e32 v1, v4
	s_cbranch_scc1 .LBB9_47
.LBB9_48:
	s_cbranch_execnz .LBB9_51
.LBB9_49:
	v_mul_hi_u32 v0, s6, v8
	v_add_u32_e32 v0, v8, v0
	v_lshrrev_b32_e32 v1, s7, v0
	v_mul_lo_u32 v0, v1, s5
	v_sub_u32_e32 v2, v8, v0
	v_mul_lo_u32 v0, v2, s40
	v_mul_lo_u32 v4, v2, s42
	s_andn2_b64 vcc, exec, s[56:57]
	v_mul_lo_u32 v2, v2, s41
	s_cbranch_vccnz .LBB9_51
; %bb.50:
	v_mul_hi_u32 v3, s9, v1
	v_add_u32_e32 v3, v1, v3
	v_lshrrev_b32_e32 v3, s10, v3
	v_mul_lo_u32 v3, v3, s8
	v_sub_u32_e32 v5, v1, v3
	v_mad_u64_u32 v[0:1], s[12:13], v5, s43, v[0:1]
	v_mad_u64_u32 v[2:3], s[12:13], v5, s54, v[2:3]
	;; [unrolled: 1-line block ×3, first 2 shown]
.LBB9_51:
	s_andn2_b64 vcc, exec, s[52:53]
	s_cbranch_vccnz .LBB9_54
; %bb.52:
	s_waitcnt lgkmcnt(0)
	global_load_ushort v9, v0, s[36:37]
	v_mov_b32_e32 v1, 0
	v_mov_b32_e32 v3, v1
	;; [unrolled: 1-line block ×3, first 2 shown]
	s_ashr_i32 s31, s30, 31
	s_ashr_i32 s15, s29, 31
	s_mov_b32 s14, s29
	v_lshl_add_u64 v[6:7], s[36:37], 0, v[0:1]
	v_lshl_add_u64 v[2:3], s[38:39], 0, v[2:3]
	;; [unrolled: 1-line block ×3, first 2 shown]
	s_lshl_b64 s[12:13], s[30:31], 1
	s_lshl_b64 s[14:15], s[14:15], 1
	s_mov_b32 s4, s28
.LBB9_53:                               ; =>This Inner Loop Header: Depth=1
	global_load_ushort v4, v[2:3], off
	global_load_ushort v5, v[0:1], off
	s_add_i32 s4, s4, -1
	v_lshl_add_u64 v[0:1], v[0:1], 0, s[12:13]
	v_lshl_add_u64 v[2:3], v[2:3], 0, s[14:15]
	s_cmp_lg_u32 s4, 0
	s_waitcnt vmcnt(0)
	v_fma_f16 v9, v4, v5, v9
	global_store_short v[6:7], v9, off
	s_cbranch_scc1 .LBB9_53
.LBB9_54:
	v_add_u32_e32 v8, 0x100, v8
	s_or_b64 exec, exec, s[60:61]
	v_cmp_gt_i32_e32 vcc, s66, v8
	s_and_saveexec_b64 s[12:13], vcc
	s_cbranch_execz .LBB9_71
.LBB9_55:
	s_and_b64 vcc, exec, s[0:1]
	s_cbranch_vccnz .LBB9_61
; %bb.56:
	v_mov_b32_e32 v4, 0
	s_andn2_b64 vcc, exec, s[2:3]
	v_mov_b32_e32 v2, 0
	v_mov_b32_e32 v0, 0
	s_cbranch_vccnz .LBB9_65
; %bb.57:
	s_add_i32 s65, s65, 1
	s_cmp_eq_u32 s64, 2
	s_cbranch_scc1 .LBB9_62
; %bb.58:
	s_and_b32 s4, s65, 28
	v_mov_b32_e32 v0, 0
	s_mov_b32 s31, 0
	v_mov_b32_e32 v6, v8
	v_mov_b32_e32 v2, 0
	;; [unrolled: 1-line block ×3, first 2 shown]
.LBB9_59:                               ; =>This Inner Loop Header: Depth=1
	s_load_dwordx8 s[12:19], s[58:59], 0x0
	s_load_dwordx4 s[0:3], s[58:59], 0x20
	s_load_dwordx4 s[44:47], s[58:59], 0xe0
	s_load_dwordx8 s[20:27], s[58:59], 0xc0
	s_add_i32 s31, s31, 4
	s_waitcnt lgkmcnt(0)
	v_mul_hi_u32 v1, s13, v6
	v_add_u32_e32 v1, v6, v1
	v_lshrrev_b32_e32 v1, s14, v1
	v_mul_hi_u32 v5, s16, v1
	v_add_u32_e32 v5, v1, v5
	v_lshrrev_b32_e32 v5, s17, v5
	v_mul_lo_u32 v3, v1, s12
	v_mul_lo_u32 v9, v5, s15
	v_mul_hi_u32 v10, s19, v5
	v_sub_u32_e32 v3, v6, v3
	v_sub_u32_e32 v1, v1, v9
	v_add_u32_e32 v9, v5, v10
	v_mul_lo_u32 v6, v3, s20
	v_mul_lo_u32 v7, v3, s22
	;; [unrolled: 1-line block ×6, first 2 shown]
	v_lshrrev_b32_e32 v9, s0, v9
	v_add3_u32 v1, v3, v2, v1
	v_add3_u32 v2, v7, v4, v11
	v_mul_hi_u32 v4, s2, v9
	v_add_u32_e32 v4, v9, v4
	v_add3_u32 v0, v6, v0, v10
	v_lshrrev_b32_e32 v6, s3, v4
	v_mul_lo_u32 v3, v9, s18
	v_mul_lo_u32 v4, v6, s1
	s_add_u32 s58, s58, 48
	v_sub_u32_e32 v3, v5, v3
	v_sub_u32_e32 v4, v9, v4
	s_addc_u32 s59, s59, 0
	v_mul_lo_u32 v5, v3, s26
	v_mul_lo_u32 v7, v3, s27
	;; [unrolled: 1-line block ×6, first 2 shown]
	s_cmp_eq_u32 s4, s31
	v_add3_u32 v0, v5, v0, v9
	v_add3_u32 v4, v3, v2, v4
	v_add3_u32 v2, v7, v1, v10
	s_cbranch_scc0 .LBB9_59
; %bb.60:
	v_mov_b32_e32 v1, v4
	s_and_b32 s2, s65, 3
	s_cmp_eq_u32 s2, 0
	s_cbranch_scc0 .LBB9_63
	s_branch .LBB9_65
.LBB9_61:
                                        ; implicit-def: $vgpr4
                                        ; implicit-def: $vgpr2
                                        ; implicit-def: $vgpr0
	s_branch .LBB9_66
.LBB9_62:
	v_mov_b32_e32 v2, 0
	s_mov_b32 s4, 0
	v_mov_b32_e32 v1, v2
                                        ; implicit-def: $vgpr4
	v_mov_b32_e32 v6, v8
	v_mov_b32_e32 v0, v2
	s_and_b32 s2, s65, 3
	s_cmp_eq_u32 s2, 0
	s_cbranch_scc1 .LBB9_65
.LBB9_63:
	s_mul_i32 s0, s4, 12
	s_add_u32 s0, s11, s0
	s_addc_u32 s1, s33, 0
	s_add_u32 s0, s0, 4
	s_addc_u32 s1, s1, 0
.LBB9_64:                               ; =>This Inner Loop Header: Depth=1
	s_load_dwordx2 s[12:13], s[0:1], 0x0
	s_load_dword s3, s[0:1], 0x8
	s_load_dwordx2 s[14:15], s[0:1], 0xc0
	s_load_dword s4, s[0:1], 0xc8
	v_mov_b32_e32 v4, v1
	s_waitcnt lgkmcnt(0)
	v_mul_hi_u32 v1, s13, v6
	v_add_u32_e32 v1, v6, v1
	v_lshrrev_b32_e32 v1, s3, v1
	v_mul_lo_u32 v3, v1, s12
	s_add_u32 s0, s0, 12
	v_sub_u32_e32 v3, v6, v3
	s_addc_u32 s1, s1, 0
	s_add_i32 s2, s2, -1
	v_mov_b32_e32 v6, v1
	v_mad_u64_u32 v[0:1], s[12:13], v3, s14, v[0:1]
	v_mad_u64_u32 v[4:5], s[12:13], v3, s4, v[4:5]
	s_cmp_lg_u32 s2, 0
	v_mad_u64_u32 v[2:3], s[12:13], v3, s15, v[2:3]
	v_mov_b32_e32 v1, v4
	s_cbranch_scc1 .LBB9_64
.LBB9_65:
	s_cbranch_execnz .LBB9_68
.LBB9_66:
	v_mul_hi_u32 v0, s6, v8
	v_add_u32_e32 v0, v8, v0
	v_lshrrev_b32_e32 v1, s7, v0
	v_mul_lo_u32 v0, v1, s5
	v_sub_u32_e32 v2, v8, v0
	v_mul_lo_u32 v0, v2, s40
	v_mul_lo_u32 v4, v2, s42
	s_andn2_b64 vcc, exec, s[56:57]
	v_mul_lo_u32 v2, v2, s41
	s_cbranch_vccnz .LBB9_68
; %bb.67:
	v_mul_hi_u32 v3, s9, v1
	v_add_u32_e32 v3, v1, v3
	v_lshrrev_b32_e32 v3, s10, v3
	v_mul_lo_u32 v3, v3, s8
	v_sub_u32_e32 v5, v1, v3
	v_mad_u64_u32 v[0:1], s[0:1], v5, s43, v[0:1]
	v_mad_u64_u32 v[2:3], s[0:1], v5, s54, v[2:3]
	;; [unrolled: 1-line block ×3, first 2 shown]
.LBB9_68:
	s_andn2_b64 vcc, exec, s[52:53]
	s_cbranch_vccnz .LBB9_71
; %bb.69:
	s_waitcnt lgkmcnt(0)
	global_load_ushort v8, v0, s[36:37]
	v_mov_b32_e32 v1, 0
	v_mov_b32_e32 v3, v1
	v_mov_b32_e32 v5, v1
	s_ashr_i32 s31, s30, 31
	s_ashr_i32 s3, s29, 31
	s_mov_b32 s2, s29
	v_lshl_add_u64 v[6:7], s[36:37], 0, v[0:1]
	v_lshl_add_u64 v[2:3], s[38:39], 0, v[2:3]
	;; [unrolled: 1-line block ×3, first 2 shown]
	s_lshl_b64 s[0:1], s[30:31], 1
	s_lshl_b64 s[2:3], s[2:3], 1
.LBB9_70:                               ; =>This Inner Loop Header: Depth=1
	global_load_ushort v4, v[2:3], off
	global_load_ushort v5, v[0:1], off
	s_add_i32 s28, s28, -1
	v_lshl_add_u64 v[0:1], v[0:1], 0, s[0:1]
	v_lshl_add_u64 v[2:3], v[2:3], 0, s[2:3]
	s_cmp_lg_u32 s28, 0
	s_waitcnt vmcnt(0)
	v_fma_f16 v8, v4, v5, v8
	global_store_short v[6:7], v8, off
	s_cbranch_scc1 .LBB9_70
.LBB9_71:
	s_endpgm
	.section	.rodata,"a",@progbits
	.p2align	6, 0x0
	.amdhsa_kernel _ZN2at6native12_GLOBAL__N_116_elemwise_kernelILi256ELi4EZNS1_43_compute_linear_combination_internal_kernelIN3c104HalfEEEvRNS_14TensorIteratorEiiiEUliE_EEviT1_
		.amdhsa_group_segment_fixed_size 0
		.amdhsa_private_segment_fixed_size 0
		.amdhsa_kernarg_size 440
		.amdhsa_user_sgpr_count 2
		.amdhsa_user_sgpr_dispatch_ptr 0
		.amdhsa_user_sgpr_queue_ptr 0
		.amdhsa_user_sgpr_kernarg_segment_ptr 1
		.amdhsa_user_sgpr_dispatch_id 0
		.amdhsa_user_sgpr_kernarg_preload_length 0
		.amdhsa_user_sgpr_kernarg_preload_offset 0
		.amdhsa_user_sgpr_private_segment_size 0
		.amdhsa_uses_dynamic_stack 0
		.amdhsa_enable_private_segment 0
		.amdhsa_system_sgpr_workgroup_id_x 1
		.amdhsa_system_sgpr_workgroup_id_y 0
		.amdhsa_system_sgpr_workgroup_id_z 0
		.amdhsa_system_sgpr_workgroup_info 0
		.amdhsa_system_vgpr_workitem_id 0
		.amdhsa_next_free_vgpr 12
		.amdhsa_next_free_sgpr 68
		.amdhsa_accum_offset 12
		.amdhsa_reserve_vcc 1
		.amdhsa_float_round_mode_32 0
		.amdhsa_float_round_mode_16_64 0
		.amdhsa_float_denorm_mode_32 3
		.amdhsa_float_denorm_mode_16_64 3
		.amdhsa_dx10_clamp 1
		.amdhsa_ieee_mode 1
		.amdhsa_fp16_overflow 0
		.amdhsa_tg_split 0
		.amdhsa_exception_fp_ieee_invalid_op 0
		.amdhsa_exception_fp_denorm_src 0
		.amdhsa_exception_fp_ieee_div_zero 0
		.amdhsa_exception_fp_ieee_overflow 0
		.amdhsa_exception_fp_ieee_underflow 0
		.amdhsa_exception_fp_ieee_inexact 0
		.amdhsa_exception_int_div_zero 0
	.end_amdhsa_kernel
	.section	.text._ZN2at6native12_GLOBAL__N_116_elemwise_kernelILi256ELi4EZNS1_43_compute_linear_combination_internal_kernelIN3c104HalfEEEvRNS_14TensorIteratorEiiiEUliE_EEviT1_,"axG",@progbits,_ZN2at6native12_GLOBAL__N_116_elemwise_kernelILi256ELi4EZNS1_43_compute_linear_combination_internal_kernelIN3c104HalfEEEvRNS_14TensorIteratorEiiiEUliE_EEviT1_,comdat
.Lfunc_end9:
	.size	_ZN2at6native12_GLOBAL__N_116_elemwise_kernelILi256ELi4EZNS1_43_compute_linear_combination_internal_kernelIN3c104HalfEEEvRNS_14TensorIteratorEiiiEUliE_EEviT1_, .Lfunc_end9-_ZN2at6native12_GLOBAL__N_116_elemwise_kernelILi256ELi4EZNS1_43_compute_linear_combination_internal_kernelIN3c104HalfEEEvRNS_14TensorIteratorEiiiEUliE_EEviT1_
                                        ; -- End function
	.set _ZN2at6native12_GLOBAL__N_116_elemwise_kernelILi256ELi4EZNS1_43_compute_linear_combination_internal_kernelIN3c104HalfEEEvRNS_14TensorIteratorEiiiEUliE_EEviT1_.num_vgpr, 12
	.set _ZN2at6native12_GLOBAL__N_116_elemwise_kernelILi256ELi4EZNS1_43_compute_linear_combination_internal_kernelIN3c104HalfEEEvRNS_14TensorIteratorEiiiEUliE_EEviT1_.num_agpr, 0
	.set _ZN2at6native12_GLOBAL__N_116_elemwise_kernelILi256ELi4EZNS1_43_compute_linear_combination_internal_kernelIN3c104HalfEEEvRNS_14TensorIteratorEiiiEUliE_EEviT1_.numbered_sgpr, 68
	.set _ZN2at6native12_GLOBAL__N_116_elemwise_kernelILi256ELi4EZNS1_43_compute_linear_combination_internal_kernelIN3c104HalfEEEvRNS_14TensorIteratorEiiiEUliE_EEviT1_.num_named_barrier, 0
	.set _ZN2at6native12_GLOBAL__N_116_elemwise_kernelILi256ELi4EZNS1_43_compute_linear_combination_internal_kernelIN3c104HalfEEEvRNS_14TensorIteratorEiiiEUliE_EEviT1_.private_seg_size, 0
	.set _ZN2at6native12_GLOBAL__N_116_elemwise_kernelILi256ELi4EZNS1_43_compute_linear_combination_internal_kernelIN3c104HalfEEEvRNS_14TensorIteratorEiiiEUliE_EEviT1_.uses_vcc, 1
	.set _ZN2at6native12_GLOBAL__N_116_elemwise_kernelILi256ELi4EZNS1_43_compute_linear_combination_internal_kernelIN3c104HalfEEEvRNS_14TensorIteratorEiiiEUliE_EEviT1_.uses_flat_scratch, 0
	.set _ZN2at6native12_GLOBAL__N_116_elemwise_kernelILi256ELi4EZNS1_43_compute_linear_combination_internal_kernelIN3c104HalfEEEvRNS_14TensorIteratorEiiiEUliE_EEviT1_.has_dyn_sized_stack, 0
	.set _ZN2at6native12_GLOBAL__N_116_elemwise_kernelILi256ELi4EZNS1_43_compute_linear_combination_internal_kernelIN3c104HalfEEEvRNS_14TensorIteratorEiiiEUliE_EEviT1_.has_recursion, 0
	.set _ZN2at6native12_GLOBAL__N_116_elemwise_kernelILi256ELi4EZNS1_43_compute_linear_combination_internal_kernelIN3c104HalfEEEvRNS_14TensorIteratorEiiiEUliE_EEviT1_.has_indirect_call, 0
	.section	.AMDGPU.csdata,"",@progbits
; Kernel info:
; codeLenInByte = 3632
; TotalNumSgprs: 74
; NumVgprs: 12
; NumAgprs: 0
; TotalNumVgprs: 12
; ScratchSize: 0
; MemoryBound: 0
; FloatMode: 240
; IeeeMode: 1
; LDSByteSize: 0 bytes/workgroup (compile time only)
; SGPRBlocks: 9
; VGPRBlocks: 1
; NumSGPRsForWavesPerEU: 74
; NumVGPRsForWavesPerEU: 12
; AccumOffset: 12
; Occupancy: 8
; WaveLimiterHint : 1
; COMPUTE_PGM_RSRC2:SCRATCH_EN: 0
; COMPUTE_PGM_RSRC2:USER_SGPR: 2
; COMPUTE_PGM_RSRC2:TRAP_HANDLER: 0
; COMPUTE_PGM_RSRC2:TGID_X_EN: 1
; COMPUTE_PGM_RSRC2:TGID_Y_EN: 0
; COMPUTE_PGM_RSRC2:TGID_Z_EN: 0
; COMPUTE_PGM_RSRC2:TIDIG_COMP_CNT: 0
; COMPUTE_PGM_RSRC3_GFX90A:ACCUM_OFFSET: 2
; COMPUTE_PGM_RSRC3_GFX90A:TG_SPLIT: 0
	.section	.text._ZN2at6native12_GLOBAL__N_116_elemwise_kernelILi256ELi4EZNS1_43_compute_linear_combination_internal_kernelIbEEvRNS_14TensorIteratorEiiiEUliE_EEviT1_,"axG",@progbits,_ZN2at6native12_GLOBAL__N_116_elemwise_kernelILi256ELi4EZNS1_43_compute_linear_combination_internal_kernelIbEEvRNS_14TensorIteratorEiiiEUliE_EEviT1_,comdat
	.globl	_ZN2at6native12_GLOBAL__N_116_elemwise_kernelILi256ELi4EZNS1_43_compute_linear_combination_internal_kernelIbEEvRNS_14TensorIteratorEiiiEUliE_EEviT1_ ; -- Begin function _ZN2at6native12_GLOBAL__N_116_elemwise_kernelILi256ELi4EZNS1_43_compute_linear_combination_internal_kernelIbEEvRNS_14TensorIteratorEiiiEUliE_EEviT1_
	.p2align	8
	.type	_ZN2at6native12_GLOBAL__N_116_elemwise_kernelILi256ELi4EZNS1_43_compute_linear_combination_internal_kernelIbEEvRNS_14TensorIteratorEiiiEUliE_EEviT1_,@function
_ZN2at6native12_GLOBAL__N_116_elemwise_kernelILi256ELi4EZNS1_43_compute_linear_combination_internal_kernelIbEEvRNS_14TensorIteratorEiiiEUliE_EEviT1_: ; @_ZN2at6native12_GLOBAL__N_116_elemwise_kernelILi256ELi4EZNS1_43_compute_linear_combination_internal_kernelIbEEvRNS_14TensorIteratorEiiiEUliE_EEviT1_
; %bb.0:
	s_load_dword s66, s[0:1], 0x0
	s_load_dwordx8 s[4:11], s[0:1], 0x8
	s_load_dwordx4 s[40:43], s[0:1], 0xcc
	s_load_dwordx2 s[54:55], s[0:1], 0xdc
	s_load_dwordx4 s[28:31], s[0:1], 0x1a8
	v_lshl_or_b32 v8, s2, 10, v0
	s_waitcnt lgkmcnt(0)
	s_add_u32 s11, s0, 8
	s_load_dwordx2 s[34:35], s[0:1], 0x1a0
	s_load_dwordx4 s[36:39], s[0:1], 0x190
	v_sub_co_u32_e64 v0, s[2:3], s4, 1
	s_nop 0
	v_readfirstlane_b32 s64, v0
	s_addc_u32 s33, s1, 0
	s_xor_b64 s[2:3], s[2:3], -1
	s_or_b32 s58, s0, 12
	s_min_u32 s65, s64, 15
	s_mov_b32 s59, s1
	s_cmp_gt_u32 s4, 1
	v_cmp_lt_u32_e64 s[0:1], 1, v0
	s_cselect_b64 s[56:57], -1, 0
	s_cmp_gt_i32 s28, 0
	v_cndmask_b32_e64 v0, 0, 1, s[0:1]
	s_mov_b64 s[12:13], -1
	s_cselect_b64 s[52:53], -1, 0
	v_cmp_gt_i32_e32 vcc, s66, v8
	v_cmp_ne_u32_e64 s[0:1], 1, v0
	s_and_saveexec_b64 s[60:61], vcc
	s_cbranch_execnz .LBB10_4
; %bb.1:
	s_or_b64 exec, exec, s[60:61]
	v_cmp_gt_i32_e32 vcc, s66, v8
	s_and_saveexec_b64 s[60:61], vcc
	s_cbranch_execnz .LBB10_21
.LBB10_2:
	s_or_b64 exec, exec, s[60:61]
	v_cmp_gt_i32_e32 vcc, s66, v8
	s_and_saveexec_b64 s[60:61], vcc
	s_cbranch_execnz .LBB10_38
.LBB10_3:
	s_or_b64 exec, exec, s[60:61]
	v_cmp_gt_i32_e32 vcc, s66, v8
	s_and_saveexec_b64 s[12:13], vcc
	s_cbranch_execnz .LBB10_55
	s_branch .LBB10_71
.LBB10_4:
	s_and_b64 vcc, exec, s[0:1]
                                        ; implicit-def: $vgpr4
                                        ; implicit-def: $vgpr2
                                        ; implicit-def: $vgpr0
	s_cbranch_vccnz .LBB10_14
; %bb.5:
	v_mov_b32_e32 v4, 0
	s_andn2_b64 vcc, exec, s[2:3]
	v_mov_b32_e32 v2, 0
	v_mov_b32_e32 v0, 0
	s_cbranch_vccnz .LBB10_13
; %bb.6:
	s_add_i32 s31, s65, 1
	s_cmp_eq_u32 s64, 2
	s_cbranch_scc1 .LBB10_10
; %bb.7:
	s_and_b32 s4, s31, 28
	v_mov_b32_e32 v0, 0
	s_mov_b32 s67, 0
	s_mov_b64 s[62:63], s[58:59]
	v_mov_b32_e32 v6, v8
	v_mov_b32_e32 v2, 0
	;; [unrolled: 1-line block ×3, first 2 shown]
.LBB10_8:                               ; =>This Inner Loop Header: Depth=1
	s_load_dwordx8 s[12:19], s[62:63], 0x0
	s_load_dwordx4 s[44:47], s[62:63], 0x20
	s_load_dwordx4 s[48:51], s[62:63], 0xe0
	s_load_dwordx8 s[20:27], s[62:63], 0xc0
	s_add_i32 s67, s67, 4
	s_waitcnt lgkmcnt(0)
	v_mul_hi_u32 v1, s13, v6
	v_add_u32_e32 v1, v6, v1
	v_lshrrev_b32_e32 v1, s14, v1
	v_mul_hi_u32 v5, s16, v1
	v_add_u32_e32 v5, v1, v5
	v_lshrrev_b32_e32 v5, s17, v5
	v_mul_lo_u32 v3, v1, s12
	v_mul_lo_u32 v9, v5, s15
	v_mul_hi_u32 v10, s19, v5
	v_sub_u32_e32 v3, v6, v3
	v_sub_u32_e32 v1, v1, v9
	v_add_u32_e32 v9, v5, v10
	v_mul_lo_u32 v6, v3, s20
	v_mul_lo_u32 v7, v3, s22
	;; [unrolled: 1-line block ×6, first 2 shown]
	v_lshrrev_b32_e32 v9, s44, v9
	v_add3_u32 v1, v3, v2, v1
	v_add3_u32 v2, v7, v4, v11
	v_mul_hi_u32 v4, s46, v9
	v_add_u32_e32 v4, v9, v4
	v_add3_u32 v0, v6, v0, v10
	v_lshrrev_b32_e32 v6, s47, v4
	v_mul_lo_u32 v3, v9, s18
	v_mul_lo_u32 v4, v6, s45
	s_add_u32 s62, s62, 48
	v_sub_u32_e32 v3, v5, v3
	v_sub_u32_e32 v4, v9, v4
	s_addc_u32 s63, s63, 0
	v_mul_lo_u32 v5, v3, s26
	v_mul_lo_u32 v7, v3, s27
	;; [unrolled: 1-line block ×6, first 2 shown]
	s_cmp_lg_u32 s4, s67
	v_add3_u32 v0, v5, v0, v9
	v_add3_u32 v4, v3, v2, v4
	;; [unrolled: 1-line block ×3, first 2 shown]
	s_cbranch_scc1 .LBB10_8
; %bb.9:
	v_mov_b32_e32 v1, v4
	s_and_b32 s14, s31, 3
	s_cmp_eq_u32 s14, 0
	s_cbranch_scc0 .LBB10_11
	s_branch .LBB10_13
.LBB10_10:
	v_mov_b32_e32 v2, 0
	s_mov_b32 s4, 0
	v_mov_b32_e32 v1, v2
                                        ; implicit-def: $vgpr4
	v_mov_b32_e32 v6, v8
	v_mov_b32_e32 v0, v2
	s_and_b32 s14, s31, 3
	s_cmp_eq_u32 s14, 0
	s_cbranch_scc1 .LBB10_13
.LBB10_11:
	s_mul_i32 s4, s4, 12
	s_add_u32 s4, s11, s4
	s_addc_u32 s13, s33, 0
	s_add_u32 s12, s4, 4
	s_addc_u32 s13, s13, 0
.LBB10_12:                              ; =>This Inner Loop Header: Depth=1
	s_load_dwordx2 s[16:17], s[12:13], 0x0
	s_load_dword s4, s[12:13], 0x8
	s_load_dwordx2 s[18:19], s[12:13], 0xc0
	s_load_dword s15, s[12:13], 0xc8
	v_mov_b32_e32 v4, v1
	s_waitcnt lgkmcnt(0)
	v_mul_hi_u32 v1, s17, v6
	v_add_u32_e32 v1, v6, v1
	v_lshrrev_b32_e32 v1, s4, v1
	v_mul_lo_u32 v3, v1, s16
	s_add_u32 s12, s12, 12
	v_sub_u32_e32 v3, v6, v3
	s_addc_u32 s13, s13, 0
	s_add_i32 s14, s14, -1
	v_mov_b32_e32 v6, v1
	v_mad_u64_u32 v[0:1], s[16:17], v3, s18, v[0:1]
	v_mad_u64_u32 v[4:5], s[16:17], v3, s15, v[4:5]
	s_cmp_lg_u32 s14, 0
	v_mad_u64_u32 v[2:3], s[16:17], v3, s19, v[2:3]
	v_mov_b32_e32 v1, v4
	s_cbranch_scc1 .LBB10_12
.LBB10_13:
	s_mov_b64 s[12:13], 0
.LBB10_14:
	s_andn2_b64 vcc, exec, s[12:13]
	s_cbranch_vccnz .LBB10_17
; %bb.15:
	v_mul_hi_u32 v0, s6, v8
	v_add_u32_e32 v0, v8, v0
	v_lshrrev_b32_e32 v1, s7, v0
	v_mul_lo_u32 v0, v1, s5
	v_sub_u32_e32 v2, v8, v0
	v_mul_lo_u32 v0, v2, s40
	v_mul_lo_u32 v4, v2, s42
	s_andn2_b64 vcc, exec, s[56:57]
	v_mul_lo_u32 v2, v2, s41
	s_cbranch_vccnz .LBB10_17
; %bb.16:
	v_mul_hi_u32 v3, s9, v1
	v_add_u32_e32 v3, v1, v3
	v_lshrrev_b32_e32 v3, s10, v3
	v_mul_lo_u32 v3, v3, s8
	v_sub_u32_e32 v5, v1, v3
	v_mad_u64_u32 v[0:1], s[12:13], v5, s43, v[0:1]
	v_mad_u64_u32 v[2:3], s[12:13], v5, s54, v[2:3]
	;; [unrolled: 1-line block ×3, first 2 shown]
.LBB10_17:
	s_andn2_b64 vcc, exec, s[52:53]
	s_cbranch_vccnz .LBB10_20
; %bb.18:
	s_waitcnt lgkmcnt(0)
	global_load_ubyte v9, v0, s[36:37]
	v_mov_b32_e32 v1, 0
	v_mov_b32_e32 v3, v1
	;; [unrolled: 1-line block ×3, first 2 shown]
	v_lshl_add_u64 v[6:7], s[36:37], 0, v[0:1]
	v_lshl_add_u64 v[2:3], s[38:39], 0, v[2:3]
	;; [unrolled: 1-line block ×3, first 2 shown]
	s_ashr_i32 s31, s30, 31
	s_ashr_i32 s13, s29, 31
	s_mov_b32 s12, s29
	s_mov_b32 s4, s28
.LBB10_19:                              ; =>This Inner Loop Header: Depth=1
	global_load_ubyte v4, v[2:3], off
	global_load_ubyte v5, v[0:1], off
	s_add_i32 s4, s4, -1
	v_lshl_add_u64 v[0:1], v[0:1], 0, s[30:31]
	v_lshl_add_u64 v[2:3], v[2:3], 0, s[12:13]
	s_cmp_lg_u32 s4, 0
	s_waitcnt vmcnt(0)
	v_mul_lo_u16_e32 v4, v5, v4
	v_or_b32_e32 v9, v4, v9
	global_store_byte v[6:7], v9, off
	s_cbranch_scc1 .LBB10_19
.LBB10_20:
	v_add_u32_e32 v8, 0x100, v8
	s_or_b64 exec, exec, s[60:61]
	v_cmp_gt_i32_e32 vcc, s66, v8
	s_and_saveexec_b64 s[60:61], vcc
	s_cbranch_execz .LBB10_2
.LBB10_21:
	s_and_b64 vcc, exec, s[0:1]
	s_cbranch_vccnz .LBB10_27
; %bb.22:
	v_mov_b32_e32 v4, 0
	s_andn2_b64 vcc, exec, s[2:3]
	v_mov_b32_e32 v2, 0
	v_mov_b32_e32 v0, 0
	s_cbranch_vccnz .LBB10_31
; %bb.23:
	s_add_i32 s31, s65, 1
	s_cmp_eq_u32 s64, 2
	s_cbranch_scc1 .LBB10_28
; %bb.24:
	s_and_b32 s4, s31, 28
	v_mov_b32_e32 v0, 0
	s_mov_b32 s67, 0
	s_mov_b64 s[62:63], s[58:59]
	v_mov_b32_e32 v6, v8
	v_mov_b32_e32 v2, 0
	;; [unrolled: 1-line block ×3, first 2 shown]
.LBB10_25:                              ; =>This Inner Loop Header: Depth=1
	s_load_dwordx8 s[12:19], s[62:63], 0x0
	s_load_dwordx4 s[44:47], s[62:63], 0x20
	s_load_dwordx4 s[48:51], s[62:63], 0xe0
	s_load_dwordx8 s[20:27], s[62:63], 0xc0
	s_add_i32 s67, s67, 4
	s_waitcnt lgkmcnt(0)
	v_mul_hi_u32 v1, s13, v6
	v_add_u32_e32 v1, v6, v1
	v_lshrrev_b32_e32 v1, s14, v1
	v_mul_hi_u32 v5, s16, v1
	v_add_u32_e32 v5, v1, v5
	v_lshrrev_b32_e32 v5, s17, v5
	v_mul_lo_u32 v3, v1, s12
	v_mul_lo_u32 v9, v5, s15
	v_mul_hi_u32 v10, s19, v5
	v_sub_u32_e32 v3, v6, v3
	v_sub_u32_e32 v1, v1, v9
	v_add_u32_e32 v9, v5, v10
	v_mul_lo_u32 v6, v3, s20
	v_mul_lo_u32 v7, v3, s22
	v_mul_lo_u32 v3, v3, s21
	v_mul_lo_u32 v10, v1, s23
	v_mul_lo_u32 v11, v1, s25
	v_mul_lo_u32 v1, v1, s24
	v_lshrrev_b32_e32 v9, s44, v9
	v_add3_u32 v1, v3, v2, v1
	v_add3_u32 v2, v7, v4, v11
	v_mul_hi_u32 v4, s46, v9
	v_add_u32_e32 v4, v9, v4
	v_add3_u32 v0, v6, v0, v10
	v_lshrrev_b32_e32 v6, s47, v4
	v_mul_lo_u32 v3, v9, s18
	v_mul_lo_u32 v4, v6, s45
	s_add_u32 s62, s62, 48
	v_sub_u32_e32 v3, v5, v3
	v_sub_u32_e32 v4, v9, v4
	s_addc_u32 s63, s63, 0
	v_mul_lo_u32 v5, v3, s26
	v_mul_lo_u32 v7, v3, s27
	;; [unrolled: 1-line block ×6, first 2 shown]
	s_cmp_eq_u32 s4, s67
	v_add3_u32 v0, v5, v0, v9
	v_add3_u32 v4, v3, v2, v4
	;; [unrolled: 1-line block ×3, first 2 shown]
	s_cbranch_scc0 .LBB10_25
; %bb.26:
	v_mov_b32_e32 v1, v4
	s_and_b32 s14, s31, 3
	s_cmp_eq_u32 s14, 0
	s_cbranch_scc0 .LBB10_29
	s_branch .LBB10_31
.LBB10_27:
                                        ; implicit-def: $vgpr4
                                        ; implicit-def: $vgpr2
                                        ; implicit-def: $vgpr0
	s_branch .LBB10_32
.LBB10_28:
	v_mov_b32_e32 v2, 0
	s_mov_b32 s4, 0
	v_mov_b32_e32 v1, v2
                                        ; implicit-def: $vgpr4
	v_mov_b32_e32 v6, v8
	v_mov_b32_e32 v0, v2
	s_and_b32 s14, s31, 3
	s_cmp_eq_u32 s14, 0
	s_cbranch_scc1 .LBB10_31
.LBB10_29:
	s_mul_i32 s4, s4, 12
	s_add_u32 s4, s11, s4
	s_addc_u32 s13, s33, 0
	s_add_u32 s12, s4, 4
	s_addc_u32 s13, s13, 0
.LBB10_30:                              ; =>This Inner Loop Header: Depth=1
	s_load_dwordx2 s[16:17], s[12:13], 0x0
	s_load_dword s4, s[12:13], 0x8
	s_load_dwordx2 s[18:19], s[12:13], 0xc0
	s_load_dword s15, s[12:13], 0xc8
	v_mov_b32_e32 v4, v1
	s_waitcnt lgkmcnt(0)
	v_mul_hi_u32 v1, s17, v6
	v_add_u32_e32 v1, v6, v1
	v_lshrrev_b32_e32 v1, s4, v1
	v_mul_lo_u32 v3, v1, s16
	s_add_u32 s12, s12, 12
	v_sub_u32_e32 v3, v6, v3
	s_addc_u32 s13, s13, 0
	s_add_i32 s14, s14, -1
	v_mov_b32_e32 v6, v1
	v_mad_u64_u32 v[0:1], s[16:17], v3, s18, v[0:1]
	v_mad_u64_u32 v[4:5], s[16:17], v3, s15, v[4:5]
	s_cmp_lg_u32 s14, 0
	v_mad_u64_u32 v[2:3], s[16:17], v3, s19, v[2:3]
	v_mov_b32_e32 v1, v4
	s_cbranch_scc1 .LBB10_30
.LBB10_31:
	s_cbranch_execnz .LBB10_34
.LBB10_32:
	v_mul_hi_u32 v0, s6, v8
	v_add_u32_e32 v0, v8, v0
	v_lshrrev_b32_e32 v1, s7, v0
	v_mul_lo_u32 v0, v1, s5
	v_sub_u32_e32 v2, v8, v0
	v_mul_lo_u32 v0, v2, s40
	v_mul_lo_u32 v4, v2, s42
	s_andn2_b64 vcc, exec, s[56:57]
	v_mul_lo_u32 v2, v2, s41
	s_cbranch_vccnz .LBB10_34
; %bb.33:
	v_mul_hi_u32 v3, s9, v1
	v_add_u32_e32 v3, v1, v3
	v_lshrrev_b32_e32 v3, s10, v3
	v_mul_lo_u32 v3, v3, s8
	v_sub_u32_e32 v5, v1, v3
	v_mad_u64_u32 v[0:1], s[12:13], v5, s43, v[0:1]
	v_mad_u64_u32 v[2:3], s[12:13], v5, s54, v[2:3]
	;; [unrolled: 1-line block ×3, first 2 shown]
.LBB10_34:
	s_andn2_b64 vcc, exec, s[52:53]
	s_cbranch_vccnz .LBB10_37
; %bb.35:
	s_waitcnt lgkmcnt(0)
	global_load_ubyte v9, v0, s[36:37]
	v_mov_b32_e32 v1, 0
	v_mov_b32_e32 v3, v1
	;; [unrolled: 1-line block ×3, first 2 shown]
	v_lshl_add_u64 v[6:7], s[36:37], 0, v[0:1]
	v_lshl_add_u64 v[2:3], s[38:39], 0, v[2:3]
	;; [unrolled: 1-line block ×3, first 2 shown]
	s_ashr_i32 s31, s30, 31
	s_ashr_i32 s13, s29, 31
	s_mov_b32 s12, s29
	s_mov_b32 s4, s28
.LBB10_36:                              ; =>This Inner Loop Header: Depth=1
	global_load_ubyte v4, v[2:3], off
	global_load_ubyte v5, v[0:1], off
	s_add_i32 s4, s4, -1
	v_lshl_add_u64 v[0:1], v[0:1], 0, s[30:31]
	v_lshl_add_u64 v[2:3], v[2:3], 0, s[12:13]
	s_cmp_lg_u32 s4, 0
	s_waitcnt vmcnt(0)
	v_mul_lo_u16_e32 v4, v5, v4
	v_or_b32_e32 v9, v4, v9
	global_store_byte v[6:7], v9, off
	s_cbranch_scc1 .LBB10_36
.LBB10_37:
	v_add_u32_e32 v8, 0x100, v8
	s_or_b64 exec, exec, s[60:61]
	v_cmp_gt_i32_e32 vcc, s66, v8
	s_and_saveexec_b64 s[60:61], vcc
	s_cbranch_execz .LBB10_3
.LBB10_38:
	s_and_b64 vcc, exec, s[0:1]
	s_cbranch_vccnz .LBB10_44
; %bb.39:
	v_mov_b32_e32 v4, 0
	s_andn2_b64 vcc, exec, s[2:3]
	v_mov_b32_e32 v2, 0
	v_mov_b32_e32 v0, 0
	s_cbranch_vccnz .LBB10_48
; %bb.40:
	s_add_i32 s31, s65, 1
	s_cmp_eq_u32 s64, 2
	s_cbranch_scc1 .LBB10_45
; %bb.41:
	s_and_b32 s4, s31, 28
	v_mov_b32_e32 v0, 0
	s_mov_b32 s67, 0
	s_mov_b64 s[62:63], s[58:59]
	v_mov_b32_e32 v6, v8
	v_mov_b32_e32 v2, 0
	;; [unrolled: 1-line block ×3, first 2 shown]
.LBB10_42:                              ; =>This Inner Loop Header: Depth=1
	s_load_dwordx8 s[12:19], s[62:63], 0x0
	s_load_dwordx4 s[44:47], s[62:63], 0x20
	s_load_dwordx4 s[48:51], s[62:63], 0xe0
	s_load_dwordx8 s[20:27], s[62:63], 0xc0
	s_add_i32 s67, s67, 4
	s_waitcnt lgkmcnt(0)
	v_mul_hi_u32 v1, s13, v6
	v_add_u32_e32 v1, v6, v1
	v_lshrrev_b32_e32 v1, s14, v1
	v_mul_hi_u32 v5, s16, v1
	v_add_u32_e32 v5, v1, v5
	v_lshrrev_b32_e32 v5, s17, v5
	v_mul_lo_u32 v3, v1, s12
	v_mul_lo_u32 v9, v5, s15
	v_mul_hi_u32 v10, s19, v5
	v_sub_u32_e32 v3, v6, v3
	v_sub_u32_e32 v1, v1, v9
	v_add_u32_e32 v9, v5, v10
	v_mul_lo_u32 v6, v3, s20
	v_mul_lo_u32 v7, v3, s22
	;; [unrolled: 1-line block ×6, first 2 shown]
	v_lshrrev_b32_e32 v9, s44, v9
	v_add3_u32 v1, v3, v2, v1
	v_add3_u32 v2, v7, v4, v11
	v_mul_hi_u32 v4, s46, v9
	v_add_u32_e32 v4, v9, v4
	v_add3_u32 v0, v6, v0, v10
	v_lshrrev_b32_e32 v6, s47, v4
	v_mul_lo_u32 v3, v9, s18
	v_mul_lo_u32 v4, v6, s45
	s_add_u32 s62, s62, 48
	v_sub_u32_e32 v3, v5, v3
	v_sub_u32_e32 v4, v9, v4
	s_addc_u32 s63, s63, 0
	v_mul_lo_u32 v5, v3, s26
	v_mul_lo_u32 v7, v3, s27
	;; [unrolled: 1-line block ×6, first 2 shown]
	s_cmp_eq_u32 s4, s67
	v_add3_u32 v0, v5, v0, v9
	v_add3_u32 v4, v3, v2, v4
	;; [unrolled: 1-line block ×3, first 2 shown]
	s_cbranch_scc0 .LBB10_42
; %bb.43:
	v_mov_b32_e32 v1, v4
	s_and_b32 s14, s31, 3
	s_cmp_eq_u32 s14, 0
	s_cbranch_scc0 .LBB10_46
	s_branch .LBB10_48
.LBB10_44:
                                        ; implicit-def: $vgpr4
                                        ; implicit-def: $vgpr2
                                        ; implicit-def: $vgpr0
	s_branch .LBB10_49
.LBB10_45:
	v_mov_b32_e32 v2, 0
	s_mov_b32 s4, 0
	v_mov_b32_e32 v1, v2
                                        ; implicit-def: $vgpr4
	v_mov_b32_e32 v6, v8
	v_mov_b32_e32 v0, v2
	s_and_b32 s14, s31, 3
	s_cmp_eq_u32 s14, 0
	s_cbranch_scc1 .LBB10_48
.LBB10_46:
	s_mul_i32 s4, s4, 12
	s_add_u32 s4, s11, s4
	s_addc_u32 s13, s33, 0
	s_add_u32 s12, s4, 4
	s_addc_u32 s13, s13, 0
.LBB10_47:                              ; =>This Inner Loop Header: Depth=1
	s_load_dwordx2 s[16:17], s[12:13], 0x0
	s_load_dword s4, s[12:13], 0x8
	s_load_dwordx2 s[18:19], s[12:13], 0xc0
	s_load_dword s15, s[12:13], 0xc8
	v_mov_b32_e32 v4, v1
	s_waitcnt lgkmcnt(0)
	v_mul_hi_u32 v1, s17, v6
	v_add_u32_e32 v1, v6, v1
	v_lshrrev_b32_e32 v1, s4, v1
	v_mul_lo_u32 v3, v1, s16
	s_add_u32 s12, s12, 12
	v_sub_u32_e32 v3, v6, v3
	s_addc_u32 s13, s13, 0
	s_add_i32 s14, s14, -1
	v_mov_b32_e32 v6, v1
	v_mad_u64_u32 v[0:1], s[16:17], v3, s18, v[0:1]
	v_mad_u64_u32 v[4:5], s[16:17], v3, s15, v[4:5]
	s_cmp_lg_u32 s14, 0
	v_mad_u64_u32 v[2:3], s[16:17], v3, s19, v[2:3]
	v_mov_b32_e32 v1, v4
	s_cbranch_scc1 .LBB10_47
.LBB10_48:
	s_cbranch_execnz .LBB10_51
.LBB10_49:
	v_mul_hi_u32 v0, s6, v8
	v_add_u32_e32 v0, v8, v0
	v_lshrrev_b32_e32 v1, s7, v0
	v_mul_lo_u32 v0, v1, s5
	v_sub_u32_e32 v2, v8, v0
	v_mul_lo_u32 v0, v2, s40
	v_mul_lo_u32 v4, v2, s42
	s_andn2_b64 vcc, exec, s[56:57]
	v_mul_lo_u32 v2, v2, s41
	s_cbranch_vccnz .LBB10_51
; %bb.50:
	v_mul_hi_u32 v3, s9, v1
	v_add_u32_e32 v3, v1, v3
	v_lshrrev_b32_e32 v3, s10, v3
	v_mul_lo_u32 v3, v3, s8
	v_sub_u32_e32 v5, v1, v3
	v_mad_u64_u32 v[0:1], s[12:13], v5, s43, v[0:1]
	v_mad_u64_u32 v[2:3], s[12:13], v5, s54, v[2:3]
	;; [unrolled: 1-line block ×3, first 2 shown]
.LBB10_51:
	s_andn2_b64 vcc, exec, s[52:53]
	s_cbranch_vccnz .LBB10_54
; %bb.52:
	s_waitcnt lgkmcnt(0)
	global_load_ubyte v9, v0, s[36:37]
	v_mov_b32_e32 v1, 0
	v_mov_b32_e32 v3, v1
	;; [unrolled: 1-line block ×3, first 2 shown]
	v_lshl_add_u64 v[6:7], s[36:37], 0, v[0:1]
	v_lshl_add_u64 v[2:3], s[38:39], 0, v[2:3]
	;; [unrolled: 1-line block ×3, first 2 shown]
	s_ashr_i32 s31, s30, 31
	s_ashr_i32 s13, s29, 31
	s_mov_b32 s12, s29
	s_mov_b32 s4, s28
.LBB10_53:                              ; =>This Inner Loop Header: Depth=1
	global_load_ubyte v4, v[2:3], off
	global_load_ubyte v5, v[0:1], off
	s_add_i32 s4, s4, -1
	v_lshl_add_u64 v[0:1], v[0:1], 0, s[30:31]
	v_lshl_add_u64 v[2:3], v[2:3], 0, s[12:13]
	s_cmp_lg_u32 s4, 0
	s_waitcnt vmcnt(0)
	v_mul_lo_u16_e32 v4, v5, v4
	v_or_b32_e32 v9, v4, v9
	global_store_byte v[6:7], v9, off
	s_cbranch_scc1 .LBB10_53
.LBB10_54:
	v_add_u32_e32 v8, 0x100, v8
	s_or_b64 exec, exec, s[60:61]
	v_cmp_gt_i32_e32 vcc, s66, v8
	s_and_saveexec_b64 s[12:13], vcc
	s_cbranch_execz .LBB10_71
.LBB10_55:
	s_and_b64 vcc, exec, s[0:1]
	s_cbranch_vccnz .LBB10_61
; %bb.56:
	v_mov_b32_e32 v4, 0
	s_andn2_b64 vcc, exec, s[2:3]
	v_mov_b32_e32 v2, 0
	v_mov_b32_e32 v0, 0
	s_cbranch_vccnz .LBB10_65
; %bb.57:
	s_add_i32 s65, s65, 1
	s_cmp_eq_u32 s64, 2
	s_cbranch_scc1 .LBB10_62
; %bb.58:
	s_and_b32 s4, s65, 28
	v_mov_b32_e32 v0, 0
	s_mov_b32 s31, 0
	v_mov_b32_e32 v6, v8
	v_mov_b32_e32 v2, 0
	;; [unrolled: 1-line block ×3, first 2 shown]
.LBB10_59:                              ; =>This Inner Loop Header: Depth=1
	s_load_dwordx8 s[12:19], s[58:59], 0x0
	s_load_dwordx4 s[0:3], s[58:59], 0x20
	s_load_dwordx4 s[44:47], s[58:59], 0xe0
	s_load_dwordx8 s[20:27], s[58:59], 0xc0
	s_add_i32 s31, s31, 4
	s_waitcnt lgkmcnt(0)
	v_mul_hi_u32 v1, s13, v6
	v_add_u32_e32 v1, v6, v1
	v_lshrrev_b32_e32 v1, s14, v1
	v_mul_hi_u32 v5, s16, v1
	v_add_u32_e32 v5, v1, v5
	v_lshrrev_b32_e32 v5, s17, v5
	v_mul_lo_u32 v3, v1, s12
	v_mul_lo_u32 v9, v5, s15
	v_mul_hi_u32 v10, s19, v5
	v_sub_u32_e32 v3, v6, v3
	v_sub_u32_e32 v1, v1, v9
	v_add_u32_e32 v9, v5, v10
	v_mul_lo_u32 v6, v3, s20
	v_mul_lo_u32 v7, v3, s22
	;; [unrolled: 1-line block ×6, first 2 shown]
	v_lshrrev_b32_e32 v9, s0, v9
	v_add3_u32 v1, v3, v2, v1
	v_add3_u32 v2, v7, v4, v11
	v_mul_hi_u32 v4, s2, v9
	v_add_u32_e32 v4, v9, v4
	v_add3_u32 v0, v6, v0, v10
	v_lshrrev_b32_e32 v6, s3, v4
	v_mul_lo_u32 v3, v9, s18
	v_mul_lo_u32 v4, v6, s1
	s_add_u32 s58, s58, 48
	v_sub_u32_e32 v3, v5, v3
	v_sub_u32_e32 v4, v9, v4
	s_addc_u32 s59, s59, 0
	v_mul_lo_u32 v5, v3, s26
	v_mul_lo_u32 v7, v3, s27
	;; [unrolled: 1-line block ×6, first 2 shown]
	s_cmp_eq_u32 s4, s31
	v_add3_u32 v0, v5, v0, v9
	v_add3_u32 v4, v3, v2, v4
	;; [unrolled: 1-line block ×3, first 2 shown]
	s_cbranch_scc0 .LBB10_59
; %bb.60:
	v_mov_b32_e32 v1, v4
	s_and_b32 s2, s65, 3
	s_cmp_eq_u32 s2, 0
	s_cbranch_scc0 .LBB10_63
	s_branch .LBB10_65
.LBB10_61:
                                        ; implicit-def: $vgpr4
                                        ; implicit-def: $vgpr2
                                        ; implicit-def: $vgpr0
	s_branch .LBB10_66
.LBB10_62:
	v_mov_b32_e32 v2, 0
	s_mov_b32 s4, 0
	v_mov_b32_e32 v1, v2
                                        ; implicit-def: $vgpr4
	v_mov_b32_e32 v6, v8
	v_mov_b32_e32 v0, v2
	s_and_b32 s2, s65, 3
	s_cmp_eq_u32 s2, 0
	s_cbranch_scc1 .LBB10_65
.LBB10_63:
	s_mul_i32 s0, s4, 12
	s_add_u32 s0, s11, s0
	s_addc_u32 s1, s33, 0
	s_add_u32 s0, s0, 4
	s_addc_u32 s1, s1, 0
.LBB10_64:                              ; =>This Inner Loop Header: Depth=1
	s_load_dwordx2 s[12:13], s[0:1], 0x0
	s_load_dword s3, s[0:1], 0x8
	s_load_dwordx2 s[14:15], s[0:1], 0xc0
	s_load_dword s4, s[0:1], 0xc8
	v_mov_b32_e32 v4, v1
	s_waitcnt lgkmcnt(0)
	v_mul_hi_u32 v1, s13, v6
	v_add_u32_e32 v1, v6, v1
	v_lshrrev_b32_e32 v1, s3, v1
	v_mul_lo_u32 v3, v1, s12
	s_add_u32 s0, s0, 12
	v_sub_u32_e32 v3, v6, v3
	s_addc_u32 s1, s1, 0
	s_add_i32 s2, s2, -1
	v_mov_b32_e32 v6, v1
	v_mad_u64_u32 v[0:1], s[12:13], v3, s14, v[0:1]
	v_mad_u64_u32 v[4:5], s[12:13], v3, s4, v[4:5]
	s_cmp_lg_u32 s2, 0
	v_mad_u64_u32 v[2:3], s[12:13], v3, s15, v[2:3]
	v_mov_b32_e32 v1, v4
	s_cbranch_scc1 .LBB10_64
.LBB10_65:
	s_cbranch_execnz .LBB10_68
.LBB10_66:
	v_mul_hi_u32 v0, s6, v8
	v_add_u32_e32 v0, v8, v0
	v_lshrrev_b32_e32 v1, s7, v0
	v_mul_lo_u32 v0, v1, s5
	v_sub_u32_e32 v2, v8, v0
	v_mul_lo_u32 v0, v2, s40
	v_mul_lo_u32 v4, v2, s42
	s_andn2_b64 vcc, exec, s[56:57]
	v_mul_lo_u32 v2, v2, s41
	s_cbranch_vccnz .LBB10_68
; %bb.67:
	v_mul_hi_u32 v3, s9, v1
	v_add_u32_e32 v3, v1, v3
	v_lshrrev_b32_e32 v3, s10, v3
	v_mul_lo_u32 v3, v3, s8
	v_sub_u32_e32 v5, v1, v3
	v_mad_u64_u32 v[0:1], s[0:1], v5, s43, v[0:1]
	v_mad_u64_u32 v[2:3], s[0:1], v5, s54, v[2:3]
	;; [unrolled: 1-line block ×3, first 2 shown]
.LBB10_68:
	s_andn2_b64 vcc, exec, s[52:53]
	s_cbranch_vccnz .LBB10_71
; %bb.69:
	s_waitcnt lgkmcnt(0)
	global_load_ubyte v8, v0, s[36:37]
	v_mov_b32_e32 v1, 0
	v_mov_b32_e32 v3, v1
	;; [unrolled: 1-line block ×3, first 2 shown]
	v_lshl_add_u64 v[6:7], s[36:37], 0, v[0:1]
	v_lshl_add_u64 v[2:3], s[38:39], 0, v[2:3]
	;; [unrolled: 1-line block ×3, first 2 shown]
	s_ashr_i32 s31, s30, 31
	s_ashr_i32 s1, s29, 31
	s_mov_b32 s0, s29
.LBB10_70:                              ; =>This Inner Loop Header: Depth=1
	global_load_ubyte v4, v[2:3], off
	global_load_ubyte v5, v[0:1], off
	s_add_i32 s28, s28, -1
	v_lshl_add_u64 v[0:1], v[0:1], 0, s[30:31]
	v_lshl_add_u64 v[2:3], v[2:3], 0, s[0:1]
	s_cmp_lg_u32 s28, 0
	s_waitcnt vmcnt(0)
	v_mul_lo_u16_e32 v4, v5, v4
	v_or_b32_e32 v8, v4, v8
	global_store_byte v[6:7], v8, off
	s_cbranch_scc1 .LBB10_70
.LBB10_71:
	s_endpgm
	.section	.rodata,"a",@progbits
	.p2align	6, 0x0
	.amdhsa_kernel _ZN2at6native12_GLOBAL__N_116_elemwise_kernelILi256ELi4EZNS1_43_compute_linear_combination_internal_kernelIbEEvRNS_14TensorIteratorEiiiEUliE_EEviT1_
		.amdhsa_group_segment_fixed_size 0
		.amdhsa_private_segment_fixed_size 0
		.amdhsa_kernarg_size 440
		.amdhsa_user_sgpr_count 2
		.amdhsa_user_sgpr_dispatch_ptr 0
		.amdhsa_user_sgpr_queue_ptr 0
		.amdhsa_user_sgpr_kernarg_segment_ptr 1
		.amdhsa_user_sgpr_dispatch_id 0
		.amdhsa_user_sgpr_kernarg_preload_length 0
		.amdhsa_user_sgpr_kernarg_preload_offset 0
		.amdhsa_user_sgpr_private_segment_size 0
		.amdhsa_uses_dynamic_stack 0
		.amdhsa_enable_private_segment 0
		.amdhsa_system_sgpr_workgroup_id_x 1
		.amdhsa_system_sgpr_workgroup_id_y 0
		.amdhsa_system_sgpr_workgroup_id_z 0
		.amdhsa_system_sgpr_workgroup_info 0
		.amdhsa_system_vgpr_workitem_id 0
		.amdhsa_next_free_vgpr 12
		.amdhsa_next_free_sgpr 68
		.amdhsa_accum_offset 12
		.amdhsa_reserve_vcc 1
		.amdhsa_float_round_mode_32 0
		.amdhsa_float_round_mode_16_64 0
		.amdhsa_float_denorm_mode_32 3
		.amdhsa_float_denorm_mode_16_64 3
		.amdhsa_dx10_clamp 1
		.amdhsa_ieee_mode 1
		.amdhsa_fp16_overflow 0
		.amdhsa_tg_split 0
		.amdhsa_exception_fp_ieee_invalid_op 0
		.amdhsa_exception_fp_denorm_src 0
		.amdhsa_exception_fp_ieee_div_zero 0
		.amdhsa_exception_fp_ieee_overflow 0
		.amdhsa_exception_fp_ieee_underflow 0
		.amdhsa_exception_fp_ieee_inexact 0
		.amdhsa_exception_int_div_zero 0
	.end_amdhsa_kernel
	.section	.text._ZN2at6native12_GLOBAL__N_116_elemwise_kernelILi256ELi4EZNS1_43_compute_linear_combination_internal_kernelIbEEvRNS_14TensorIteratorEiiiEUliE_EEviT1_,"axG",@progbits,_ZN2at6native12_GLOBAL__N_116_elemwise_kernelILi256ELi4EZNS1_43_compute_linear_combination_internal_kernelIbEEvRNS_14TensorIteratorEiiiEUliE_EEviT1_,comdat
.Lfunc_end10:
	.size	_ZN2at6native12_GLOBAL__N_116_elemwise_kernelILi256ELi4EZNS1_43_compute_linear_combination_internal_kernelIbEEvRNS_14TensorIteratorEiiiEUliE_EEviT1_, .Lfunc_end10-_ZN2at6native12_GLOBAL__N_116_elemwise_kernelILi256ELi4EZNS1_43_compute_linear_combination_internal_kernelIbEEvRNS_14TensorIteratorEiiiEUliE_EEviT1_
                                        ; -- End function
	.set _ZN2at6native12_GLOBAL__N_116_elemwise_kernelILi256ELi4EZNS1_43_compute_linear_combination_internal_kernelIbEEvRNS_14TensorIteratorEiiiEUliE_EEviT1_.num_vgpr, 12
	.set _ZN2at6native12_GLOBAL__N_116_elemwise_kernelILi256ELi4EZNS1_43_compute_linear_combination_internal_kernelIbEEvRNS_14TensorIteratorEiiiEUliE_EEviT1_.num_agpr, 0
	.set _ZN2at6native12_GLOBAL__N_116_elemwise_kernelILi256ELi4EZNS1_43_compute_linear_combination_internal_kernelIbEEvRNS_14TensorIteratorEiiiEUliE_EEviT1_.numbered_sgpr, 68
	.set _ZN2at6native12_GLOBAL__N_116_elemwise_kernelILi256ELi4EZNS1_43_compute_linear_combination_internal_kernelIbEEvRNS_14TensorIteratorEiiiEUliE_EEviT1_.num_named_barrier, 0
	.set _ZN2at6native12_GLOBAL__N_116_elemwise_kernelILi256ELi4EZNS1_43_compute_linear_combination_internal_kernelIbEEvRNS_14TensorIteratorEiiiEUliE_EEviT1_.private_seg_size, 0
	.set _ZN2at6native12_GLOBAL__N_116_elemwise_kernelILi256ELi4EZNS1_43_compute_linear_combination_internal_kernelIbEEvRNS_14TensorIteratorEiiiEUliE_EEviT1_.uses_vcc, 1
	.set _ZN2at6native12_GLOBAL__N_116_elemwise_kernelILi256ELi4EZNS1_43_compute_linear_combination_internal_kernelIbEEvRNS_14TensorIteratorEiiiEUliE_EEviT1_.uses_flat_scratch, 0
	.set _ZN2at6native12_GLOBAL__N_116_elemwise_kernelILi256ELi4EZNS1_43_compute_linear_combination_internal_kernelIbEEvRNS_14TensorIteratorEiiiEUliE_EEviT1_.has_dyn_sized_stack, 0
	.set _ZN2at6native12_GLOBAL__N_116_elemwise_kernelILi256ELi4EZNS1_43_compute_linear_combination_internal_kernelIbEEvRNS_14TensorIteratorEiiiEUliE_EEviT1_.has_recursion, 0
	.set _ZN2at6native12_GLOBAL__N_116_elemwise_kernelILi256ELi4EZNS1_43_compute_linear_combination_internal_kernelIbEEvRNS_14TensorIteratorEiiiEUliE_EEviT1_.has_indirect_call, 0
	.section	.AMDGPU.csdata,"",@progbits
; Kernel info:
; codeLenInByte = 3600
; TotalNumSgprs: 74
; NumVgprs: 12
; NumAgprs: 0
; TotalNumVgprs: 12
; ScratchSize: 0
; MemoryBound: 0
; FloatMode: 240
; IeeeMode: 1
; LDSByteSize: 0 bytes/workgroup (compile time only)
; SGPRBlocks: 9
; VGPRBlocks: 1
; NumSGPRsForWavesPerEU: 74
; NumVGPRsForWavesPerEU: 12
; AccumOffset: 12
; Occupancy: 8
; WaveLimiterHint : 1
; COMPUTE_PGM_RSRC2:SCRATCH_EN: 0
; COMPUTE_PGM_RSRC2:USER_SGPR: 2
; COMPUTE_PGM_RSRC2:TRAP_HANDLER: 0
; COMPUTE_PGM_RSRC2:TGID_X_EN: 1
; COMPUTE_PGM_RSRC2:TGID_Y_EN: 0
; COMPUTE_PGM_RSRC2:TGID_Z_EN: 0
; COMPUTE_PGM_RSRC2:TIDIG_COMP_CNT: 0
; COMPUTE_PGM_RSRC3_GFX90A:ACCUM_OFFSET: 2
; COMPUTE_PGM_RSRC3_GFX90A:TG_SPLIT: 0
	.section	.text._ZN2at6native12_GLOBAL__N_116_elemwise_kernelILi256ELi4EZNS1_43_compute_linear_combination_internal_kernelIN3c108BFloat16EEEvRNS_14TensorIteratorEiiiEUliE_EEviT1_,"axG",@progbits,_ZN2at6native12_GLOBAL__N_116_elemwise_kernelILi256ELi4EZNS1_43_compute_linear_combination_internal_kernelIN3c108BFloat16EEEvRNS_14TensorIteratorEiiiEUliE_EEviT1_,comdat
	.globl	_ZN2at6native12_GLOBAL__N_116_elemwise_kernelILi256ELi4EZNS1_43_compute_linear_combination_internal_kernelIN3c108BFloat16EEEvRNS_14TensorIteratorEiiiEUliE_EEviT1_ ; -- Begin function _ZN2at6native12_GLOBAL__N_116_elemwise_kernelILi256ELi4EZNS1_43_compute_linear_combination_internal_kernelIN3c108BFloat16EEEvRNS_14TensorIteratorEiiiEUliE_EEviT1_
	.p2align	8
	.type	_ZN2at6native12_GLOBAL__N_116_elemwise_kernelILi256ELi4EZNS1_43_compute_linear_combination_internal_kernelIN3c108BFloat16EEEvRNS_14TensorIteratorEiiiEUliE_EEviT1_,@function
_ZN2at6native12_GLOBAL__N_116_elemwise_kernelILi256ELi4EZNS1_43_compute_linear_combination_internal_kernelIN3c108BFloat16EEEvRNS_14TensorIteratorEiiiEUliE_EEviT1_: ; @_ZN2at6native12_GLOBAL__N_116_elemwise_kernelILi256ELi4EZNS1_43_compute_linear_combination_internal_kernelIN3c108BFloat16EEEvRNS_14TensorIteratorEiiiEUliE_EEviT1_
; %bb.0:
	s_load_dword s66, s[0:1], 0x0
	s_load_dwordx8 s[4:11], s[0:1], 0x8
	s_load_dwordx4 s[40:43], s[0:1], 0xcc
	s_load_dwordx2 s[54:55], s[0:1], 0xdc
	s_load_dwordx4 s[28:31], s[0:1], 0x1a8
	v_lshl_or_b32 v8, s2, 10, v0
	s_waitcnt lgkmcnt(0)
	s_add_u32 s11, s0, 8
	s_load_dwordx2 s[34:35], s[0:1], 0x1a0
	s_load_dwordx4 s[36:39], s[0:1], 0x190
	v_sub_co_u32_e64 v0, s[2:3], s4, 1
	s_nop 0
	v_readfirstlane_b32 s64, v0
	s_addc_u32 s33, s1, 0
	s_xor_b64 s[2:3], s[2:3], -1
	s_or_b32 s58, s0, 12
	s_min_u32 s65, s64, 15
	s_mov_b32 s59, s1
	s_cmp_gt_u32 s4, 1
	v_cmp_lt_u32_e64 s[0:1], 1, v0
	s_cselect_b64 s[56:57], -1, 0
	s_cmp_gt_i32 s28, 0
	v_cndmask_b32_e64 v0, 0, 1, s[0:1]
	s_mov_b64 s[12:13], -1
	s_cselect_b64 s[52:53], -1, 0
	v_cmp_gt_i32_e32 vcc, s66, v8
	v_cmp_ne_u32_e64 s[0:1], 1, v0
	s_and_saveexec_b64 s[60:61], vcc
	s_cbranch_execnz .LBB11_4
; %bb.1:
	s_or_b64 exec, exec, s[60:61]
	v_cmp_gt_i32_e32 vcc, s66, v8
	s_and_saveexec_b64 s[60:61], vcc
	s_cbranch_execnz .LBB11_21
.LBB11_2:
	s_or_b64 exec, exec, s[60:61]
	v_cmp_gt_i32_e32 vcc, s66, v8
	s_and_saveexec_b64 s[60:61], vcc
	s_cbranch_execnz .LBB11_38
.LBB11_3:
	s_or_b64 exec, exec, s[60:61]
	v_cmp_gt_i32_e32 vcc, s66, v8
	s_and_saveexec_b64 s[12:13], vcc
	s_cbranch_execnz .LBB11_55
	s_branch .LBB11_71
.LBB11_4:
	s_and_b64 vcc, exec, s[0:1]
                                        ; implicit-def: $vgpr4
                                        ; implicit-def: $vgpr2
                                        ; implicit-def: $vgpr0
	s_cbranch_vccnz .LBB11_14
; %bb.5:
	v_mov_b32_e32 v4, 0
	s_andn2_b64 vcc, exec, s[2:3]
	v_mov_b32_e32 v2, 0
	v_mov_b32_e32 v0, 0
	s_cbranch_vccnz .LBB11_13
; %bb.6:
	s_add_i32 s31, s65, 1
	s_cmp_eq_u32 s64, 2
	s_cbranch_scc1 .LBB11_10
; %bb.7:
	s_and_b32 s4, s31, 28
	v_mov_b32_e32 v0, 0
	s_mov_b32 s67, 0
	s_mov_b64 s[62:63], s[58:59]
	v_mov_b32_e32 v6, v8
	v_mov_b32_e32 v2, 0
	;; [unrolled: 1-line block ×3, first 2 shown]
.LBB11_8:                               ; =>This Inner Loop Header: Depth=1
	s_load_dwordx8 s[12:19], s[62:63], 0x0
	s_load_dwordx4 s[44:47], s[62:63], 0x20
	s_load_dwordx4 s[48:51], s[62:63], 0xe0
	s_load_dwordx8 s[20:27], s[62:63], 0xc0
	s_add_i32 s67, s67, 4
	s_waitcnt lgkmcnt(0)
	v_mul_hi_u32 v1, s13, v6
	v_add_u32_e32 v1, v6, v1
	v_lshrrev_b32_e32 v1, s14, v1
	v_mul_hi_u32 v5, s16, v1
	v_add_u32_e32 v5, v1, v5
	v_lshrrev_b32_e32 v5, s17, v5
	v_mul_lo_u32 v3, v1, s12
	v_mul_lo_u32 v9, v5, s15
	v_mul_hi_u32 v10, s19, v5
	v_sub_u32_e32 v3, v6, v3
	v_sub_u32_e32 v1, v1, v9
	v_add_u32_e32 v9, v5, v10
	v_mul_lo_u32 v6, v3, s20
	v_mul_lo_u32 v7, v3, s22
	;; [unrolled: 1-line block ×6, first 2 shown]
	v_lshrrev_b32_e32 v9, s44, v9
	v_add3_u32 v1, v3, v2, v1
	v_add3_u32 v2, v7, v4, v11
	v_mul_hi_u32 v4, s46, v9
	v_add_u32_e32 v4, v9, v4
	v_add3_u32 v0, v6, v0, v10
	v_lshrrev_b32_e32 v6, s47, v4
	v_mul_lo_u32 v3, v9, s18
	v_mul_lo_u32 v4, v6, s45
	s_add_u32 s62, s62, 48
	v_sub_u32_e32 v3, v5, v3
	v_sub_u32_e32 v4, v9, v4
	s_addc_u32 s63, s63, 0
	v_mul_lo_u32 v5, v3, s26
	v_mul_lo_u32 v7, v3, s27
	v_mul_lo_u32 v3, v3, s48
	v_mul_lo_u32 v9, v4, s49
	v_mul_lo_u32 v10, v4, s50
	v_mul_lo_u32 v4, v4, s51
	s_cmp_lg_u32 s4, s67
	v_add3_u32 v0, v5, v0, v9
	v_add3_u32 v4, v3, v2, v4
	;; [unrolled: 1-line block ×3, first 2 shown]
	s_cbranch_scc1 .LBB11_8
; %bb.9:
	v_mov_b32_e32 v1, v4
	s_and_b32 s14, s31, 3
	s_cmp_eq_u32 s14, 0
	s_cbranch_scc0 .LBB11_11
	s_branch .LBB11_13
.LBB11_10:
	v_mov_b32_e32 v2, 0
	s_mov_b32 s4, 0
	v_mov_b32_e32 v1, v2
                                        ; implicit-def: $vgpr4
	v_mov_b32_e32 v6, v8
	v_mov_b32_e32 v0, v2
	s_and_b32 s14, s31, 3
	s_cmp_eq_u32 s14, 0
	s_cbranch_scc1 .LBB11_13
.LBB11_11:
	s_mul_i32 s4, s4, 12
	s_add_u32 s4, s11, s4
	s_addc_u32 s13, s33, 0
	s_add_u32 s12, s4, 4
	s_addc_u32 s13, s13, 0
.LBB11_12:                              ; =>This Inner Loop Header: Depth=1
	s_load_dwordx2 s[16:17], s[12:13], 0x0
	s_load_dword s4, s[12:13], 0x8
	s_load_dwordx2 s[18:19], s[12:13], 0xc0
	s_load_dword s15, s[12:13], 0xc8
	v_mov_b32_e32 v4, v1
	s_waitcnt lgkmcnt(0)
	v_mul_hi_u32 v1, s17, v6
	v_add_u32_e32 v1, v6, v1
	v_lshrrev_b32_e32 v1, s4, v1
	v_mul_lo_u32 v3, v1, s16
	s_add_u32 s12, s12, 12
	v_sub_u32_e32 v3, v6, v3
	s_addc_u32 s13, s13, 0
	s_add_i32 s14, s14, -1
	v_mov_b32_e32 v6, v1
	v_mad_u64_u32 v[0:1], s[16:17], v3, s18, v[0:1]
	v_mad_u64_u32 v[4:5], s[16:17], v3, s15, v[4:5]
	s_cmp_lg_u32 s14, 0
	v_mad_u64_u32 v[2:3], s[16:17], v3, s19, v[2:3]
	v_mov_b32_e32 v1, v4
	s_cbranch_scc1 .LBB11_12
.LBB11_13:
	s_mov_b64 s[12:13], 0
.LBB11_14:
	s_andn2_b64 vcc, exec, s[12:13]
	s_cbranch_vccnz .LBB11_17
; %bb.15:
	v_mul_hi_u32 v0, s6, v8
	v_add_u32_e32 v0, v8, v0
	v_lshrrev_b32_e32 v1, s7, v0
	v_mul_lo_u32 v0, v1, s5
	v_sub_u32_e32 v2, v8, v0
	v_mul_lo_u32 v0, v2, s40
	v_mul_lo_u32 v4, v2, s42
	s_andn2_b64 vcc, exec, s[56:57]
	v_mul_lo_u32 v2, v2, s41
	s_cbranch_vccnz .LBB11_17
; %bb.16:
	v_mul_hi_u32 v3, s9, v1
	v_add_u32_e32 v3, v1, v3
	v_lshrrev_b32_e32 v3, s10, v3
	v_mul_lo_u32 v3, v3, s8
	v_sub_u32_e32 v5, v1, v3
	v_mad_u64_u32 v[0:1], s[12:13], v5, s43, v[0:1]
	v_mad_u64_u32 v[2:3], s[12:13], v5, s54, v[2:3]
	;; [unrolled: 1-line block ×3, first 2 shown]
.LBB11_17:
	s_andn2_b64 vcc, exec, s[52:53]
	s_cbranch_vccnz .LBB11_20
; %bb.18:
	s_waitcnt lgkmcnt(0)
	global_load_ushort v9, v0, s[36:37]
	v_mov_b32_e32 v1, 0
	v_mov_b32_e32 v3, v1
	v_mov_b32_e32 v5, v1
	s_ashr_i32 s31, s30, 31
	s_ashr_i32 s15, s29, 31
	s_mov_b32 s14, s29
	v_lshl_add_u64 v[6:7], s[36:37], 0, v[0:1]
	v_lshl_add_u64 v[2:3], s[38:39], 0, v[2:3]
	;; [unrolled: 1-line block ×3, first 2 shown]
	s_lshl_b64 s[12:13], s[30:31], 1
	s_lshl_b64 s[14:15], s[14:15], 1
	s_movk_i32 s4, 0x7fff
	v_mov_b32_e32 v4, 0x7fc00000
	v_mov_b32_e32 v5, 0x7fc0
	s_mov_b32 s16, s28
.LBB11_19:                              ; =>This Inner Loop Header: Depth=1
	global_load_ushort v10, v[2:3], off
	global_load_ushort v11, v[0:1], off
	s_waitcnt vmcnt(2)
	v_lshlrev_b32_e32 v9, 16, v9
	s_add_i32 s16, s16, -1
	v_lshl_add_u64 v[0:1], v[0:1], 0, s[12:13]
	v_lshl_add_u64 v[2:3], v[2:3], 0, s[14:15]
	s_cmp_lg_u32 s16, 0
	s_waitcnt vmcnt(1)
	v_lshlrev_b32_e32 v10, 16, v10
	s_waitcnt vmcnt(0)
	v_lshlrev_b32_e32 v11, 16, v11
	v_mul_f32_e32 v10, v11, v10
	v_bfe_u32 v11, v10, 16, 1
	v_add3_u32 v11, v10, v11, s4
	v_and_b32_e32 v11, 0xffff0000, v11
	v_cmp_o_f32_e32 vcc, v10, v10
	s_nop 1
	v_cndmask_b32_e32 v10, v4, v11, vcc
	v_add_f32_e32 v9, v10, v9
	v_bfe_u32 v10, v9, 16, 1
	v_cmp_o_f32_e32 vcc, v9, v9
	v_add3_u32 v9, v9, v10, s4
	s_nop 0
	v_cndmask_b32_sdwa v9, v5, v9, vcc dst_sel:DWORD dst_unused:UNUSED_PAD src0_sel:DWORD src1_sel:WORD_1
	global_store_short v[6:7], v9, off
	s_cbranch_scc1 .LBB11_19
.LBB11_20:
	v_add_u32_e32 v8, 0x100, v8
	s_or_b64 exec, exec, s[60:61]
	v_cmp_gt_i32_e32 vcc, s66, v8
	s_and_saveexec_b64 s[60:61], vcc
	s_cbranch_execz .LBB11_2
.LBB11_21:
	s_and_b64 vcc, exec, s[0:1]
	s_cbranch_vccnz .LBB11_27
; %bb.22:
	v_mov_b32_e32 v4, 0
	s_andn2_b64 vcc, exec, s[2:3]
	v_mov_b32_e32 v2, 0
	v_mov_b32_e32 v0, 0
	s_cbranch_vccnz .LBB11_31
; %bb.23:
	s_add_i32 s31, s65, 1
	s_cmp_eq_u32 s64, 2
	s_cbranch_scc1 .LBB11_28
; %bb.24:
	s_and_b32 s4, s31, 28
	v_mov_b32_e32 v0, 0
	s_mov_b32 s67, 0
	s_mov_b64 s[62:63], s[58:59]
	v_mov_b32_e32 v6, v8
	v_mov_b32_e32 v2, 0
	;; [unrolled: 1-line block ×3, first 2 shown]
.LBB11_25:                              ; =>This Inner Loop Header: Depth=1
	s_load_dwordx8 s[12:19], s[62:63], 0x0
	s_load_dwordx4 s[44:47], s[62:63], 0x20
	s_load_dwordx4 s[48:51], s[62:63], 0xe0
	s_load_dwordx8 s[20:27], s[62:63], 0xc0
	s_add_i32 s67, s67, 4
	s_waitcnt lgkmcnt(0)
	v_mul_hi_u32 v1, s13, v6
	v_add_u32_e32 v1, v6, v1
	v_lshrrev_b32_e32 v1, s14, v1
	v_mul_hi_u32 v5, s16, v1
	v_add_u32_e32 v5, v1, v5
	v_lshrrev_b32_e32 v5, s17, v5
	v_mul_lo_u32 v3, v1, s12
	v_mul_lo_u32 v9, v5, s15
	v_mul_hi_u32 v10, s19, v5
	v_sub_u32_e32 v3, v6, v3
	v_sub_u32_e32 v1, v1, v9
	v_add_u32_e32 v9, v5, v10
	v_mul_lo_u32 v6, v3, s20
	v_mul_lo_u32 v7, v3, s22
	;; [unrolled: 1-line block ×6, first 2 shown]
	v_lshrrev_b32_e32 v9, s44, v9
	v_add3_u32 v1, v3, v2, v1
	v_add3_u32 v2, v7, v4, v11
	v_mul_hi_u32 v4, s46, v9
	v_add_u32_e32 v4, v9, v4
	v_add3_u32 v0, v6, v0, v10
	v_lshrrev_b32_e32 v6, s47, v4
	v_mul_lo_u32 v3, v9, s18
	v_mul_lo_u32 v4, v6, s45
	s_add_u32 s62, s62, 48
	v_sub_u32_e32 v3, v5, v3
	v_sub_u32_e32 v4, v9, v4
	s_addc_u32 s63, s63, 0
	v_mul_lo_u32 v5, v3, s26
	v_mul_lo_u32 v7, v3, s27
	;; [unrolled: 1-line block ×6, first 2 shown]
	s_cmp_eq_u32 s4, s67
	v_add3_u32 v0, v5, v0, v9
	v_add3_u32 v4, v3, v2, v4
	;; [unrolled: 1-line block ×3, first 2 shown]
	s_cbranch_scc0 .LBB11_25
; %bb.26:
	v_mov_b32_e32 v1, v4
	s_and_b32 s14, s31, 3
	s_cmp_eq_u32 s14, 0
	s_cbranch_scc0 .LBB11_29
	s_branch .LBB11_31
.LBB11_27:
                                        ; implicit-def: $vgpr4
                                        ; implicit-def: $vgpr2
                                        ; implicit-def: $vgpr0
	s_branch .LBB11_32
.LBB11_28:
	v_mov_b32_e32 v2, 0
	s_mov_b32 s4, 0
	v_mov_b32_e32 v1, v2
                                        ; implicit-def: $vgpr4
	v_mov_b32_e32 v6, v8
	v_mov_b32_e32 v0, v2
	s_and_b32 s14, s31, 3
	s_cmp_eq_u32 s14, 0
	s_cbranch_scc1 .LBB11_31
.LBB11_29:
	s_mul_i32 s4, s4, 12
	s_add_u32 s4, s11, s4
	s_addc_u32 s13, s33, 0
	s_add_u32 s12, s4, 4
	s_addc_u32 s13, s13, 0
.LBB11_30:                              ; =>This Inner Loop Header: Depth=1
	s_load_dwordx2 s[16:17], s[12:13], 0x0
	s_load_dword s4, s[12:13], 0x8
	s_load_dwordx2 s[18:19], s[12:13], 0xc0
	s_load_dword s15, s[12:13], 0xc8
	v_mov_b32_e32 v4, v1
	s_waitcnt lgkmcnt(0)
	v_mul_hi_u32 v1, s17, v6
	v_add_u32_e32 v1, v6, v1
	v_lshrrev_b32_e32 v1, s4, v1
	v_mul_lo_u32 v3, v1, s16
	s_add_u32 s12, s12, 12
	v_sub_u32_e32 v3, v6, v3
	s_addc_u32 s13, s13, 0
	s_add_i32 s14, s14, -1
	v_mov_b32_e32 v6, v1
	v_mad_u64_u32 v[0:1], s[16:17], v3, s18, v[0:1]
	v_mad_u64_u32 v[4:5], s[16:17], v3, s15, v[4:5]
	s_cmp_lg_u32 s14, 0
	v_mad_u64_u32 v[2:3], s[16:17], v3, s19, v[2:3]
	v_mov_b32_e32 v1, v4
	s_cbranch_scc1 .LBB11_30
.LBB11_31:
	s_cbranch_execnz .LBB11_34
.LBB11_32:
	v_mul_hi_u32 v0, s6, v8
	v_add_u32_e32 v0, v8, v0
	v_lshrrev_b32_e32 v1, s7, v0
	v_mul_lo_u32 v0, v1, s5
	v_sub_u32_e32 v2, v8, v0
	v_mul_lo_u32 v0, v2, s40
	v_mul_lo_u32 v4, v2, s42
	s_andn2_b64 vcc, exec, s[56:57]
	v_mul_lo_u32 v2, v2, s41
	s_cbranch_vccnz .LBB11_34
; %bb.33:
	v_mul_hi_u32 v3, s9, v1
	v_add_u32_e32 v3, v1, v3
	v_lshrrev_b32_e32 v3, s10, v3
	v_mul_lo_u32 v3, v3, s8
	v_sub_u32_e32 v5, v1, v3
	v_mad_u64_u32 v[0:1], s[12:13], v5, s43, v[0:1]
	v_mad_u64_u32 v[2:3], s[12:13], v5, s54, v[2:3]
	;; [unrolled: 1-line block ×3, first 2 shown]
.LBB11_34:
	s_andn2_b64 vcc, exec, s[52:53]
	s_cbranch_vccnz .LBB11_37
; %bb.35:
	s_waitcnt lgkmcnt(0)
	global_load_ushort v9, v0, s[36:37]
	v_mov_b32_e32 v1, 0
	v_mov_b32_e32 v3, v1
	;; [unrolled: 1-line block ×3, first 2 shown]
	s_ashr_i32 s31, s30, 31
	s_ashr_i32 s15, s29, 31
	s_mov_b32 s14, s29
	v_lshl_add_u64 v[6:7], s[36:37], 0, v[0:1]
	v_lshl_add_u64 v[2:3], s[38:39], 0, v[2:3]
	;; [unrolled: 1-line block ×3, first 2 shown]
	s_lshl_b64 s[12:13], s[30:31], 1
	s_lshl_b64 s[14:15], s[14:15], 1
	s_movk_i32 s4, 0x7fff
	v_mov_b32_e32 v4, 0x7fc00000
	v_mov_b32_e32 v5, 0x7fc0
	s_mov_b32 s16, s28
.LBB11_36:                              ; =>This Inner Loop Header: Depth=1
	global_load_ushort v10, v[2:3], off
	global_load_ushort v11, v[0:1], off
	s_waitcnt vmcnt(2)
	v_lshlrev_b32_e32 v9, 16, v9
	s_add_i32 s16, s16, -1
	v_lshl_add_u64 v[0:1], v[0:1], 0, s[12:13]
	v_lshl_add_u64 v[2:3], v[2:3], 0, s[14:15]
	s_cmp_lg_u32 s16, 0
	s_waitcnt vmcnt(1)
	v_lshlrev_b32_e32 v10, 16, v10
	s_waitcnt vmcnt(0)
	v_lshlrev_b32_e32 v11, 16, v11
	v_mul_f32_e32 v10, v11, v10
	v_bfe_u32 v11, v10, 16, 1
	v_add3_u32 v11, v10, v11, s4
	v_and_b32_e32 v11, 0xffff0000, v11
	v_cmp_o_f32_e32 vcc, v10, v10
	s_nop 1
	v_cndmask_b32_e32 v10, v4, v11, vcc
	v_add_f32_e32 v9, v10, v9
	v_bfe_u32 v10, v9, 16, 1
	v_cmp_o_f32_e32 vcc, v9, v9
	v_add3_u32 v9, v9, v10, s4
	s_nop 0
	v_cndmask_b32_sdwa v9, v5, v9, vcc dst_sel:DWORD dst_unused:UNUSED_PAD src0_sel:DWORD src1_sel:WORD_1
	global_store_short v[6:7], v9, off
	s_cbranch_scc1 .LBB11_36
.LBB11_37:
	v_add_u32_e32 v8, 0x100, v8
	s_or_b64 exec, exec, s[60:61]
	v_cmp_gt_i32_e32 vcc, s66, v8
	s_and_saveexec_b64 s[60:61], vcc
	s_cbranch_execz .LBB11_3
.LBB11_38:
	s_and_b64 vcc, exec, s[0:1]
	s_cbranch_vccnz .LBB11_44
; %bb.39:
	v_mov_b32_e32 v4, 0
	s_andn2_b64 vcc, exec, s[2:3]
	v_mov_b32_e32 v2, 0
	v_mov_b32_e32 v0, 0
	s_cbranch_vccnz .LBB11_48
; %bb.40:
	s_add_i32 s31, s65, 1
	s_cmp_eq_u32 s64, 2
	s_cbranch_scc1 .LBB11_45
; %bb.41:
	s_and_b32 s4, s31, 28
	v_mov_b32_e32 v0, 0
	s_mov_b32 s67, 0
	s_mov_b64 s[62:63], s[58:59]
	v_mov_b32_e32 v6, v8
	v_mov_b32_e32 v2, 0
	;; [unrolled: 1-line block ×3, first 2 shown]
.LBB11_42:                              ; =>This Inner Loop Header: Depth=1
	s_load_dwordx8 s[12:19], s[62:63], 0x0
	s_load_dwordx4 s[44:47], s[62:63], 0x20
	s_load_dwordx4 s[48:51], s[62:63], 0xe0
	s_load_dwordx8 s[20:27], s[62:63], 0xc0
	s_add_i32 s67, s67, 4
	s_waitcnt lgkmcnt(0)
	v_mul_hi_u32 v1, s13, v6
	v_add_u32_e32 v1, v6, v1
	v_lshrrev_b32_e32 v1, s14, v1
	v_mul_hi_u32 v5, s16, v1
	v_add_u32_e32 v5, v1, v5
	v_lshrrev_b32_e32 v5, s17, v5
	v_mul_lo_u32 v3, v1, s12
	v_mul_lo_u32 v9, v5, s15
	v_mul_hi_u32 v10, s19, v5
	v_sub_u32_e32 v3, v6, v3
	v_sub_u32_e32 v1, v1, v9
	v_add_u32_e32 v9, v5, v10
	v_mul_lo_u32 v6, v3, s20
	v_mul_lo_u32 v7, v3, s22
	;; [unrolled: 1-line block ×6, first 2 shown]
	v_lshrrev_b32_e32 v9, s44, v9
	v_add3_u32 v1, v3, v2, v1
	v_add3_u32 v2, v7, v4, v11
	v_mul_hi_u32 v4, s46, v9
	v_add_u32_e32 v4, v9, v4
	v_add3_u32 v0, v6, v0, v10
	v_lshrrev_b32_e32 v6, s47, v4
	v_mul_lo_u32 v3, v9, s18
	v_mul_lo_u32 v4, v6, s45
	s_add_u32 s62, s62, 48
	v_sub_u32_e32 v3, v5, v3
	v_sub_u32_e32 v4, v9, v4
	s_addc_u32 s63, s63, 0
	v_mul_lo_u32 v5, v3, s26
	v_mul_lo_u32 v7, v3, s27
	;; [unrolled: 1-line block ×6, first 2 shown]
	s_cmp_eq_u32 s4, s67
	v_add3_u32 v0, v5, v0, v9
	v_add3_u32 v4, v3, v2, v4
	;; [unrolled: 1-line block ×3, first 2 shown]
	s_cbranch_scc0 .LBB11_42
; %bb.43:
	v_mov_b32_e32 v1, v4
	s_and_b32 s14, s31, 3
	s_cmp_eq_u32 s14, 0
	s_cbranch_scc0 .LBB11_46
	s_branch .LBB11_48
.LBB11_44:
                                        ; implicit-def: $vgpr4
                                        ; implicit-def: $vgpr2
                                        ; implicit-def: $vgpr0
	s_branch .LBB11_49
.LBB11_45:
	v_mov_b32_e32 v2, 0
	s_mov_b32 s4, 0
	v_mov_b32_e32 v1, v2
                                        ; implicit-def: $vgpr4
	v_mov_b32_e32 v6, v8
	v_mov_b32_e32 v0, v2
	s_and_b32 s14, s31, 3
	s_cmp_eq_u32 s14, 0
	s_cbranch_scc1 .LBB11_48
.LBB11_46:
	s_mul_i32 s4, s4, 12
	s_add_u32 s4, s11, s4
	s_addc_u32 s13, s33, 0
	s_add_u32 s12, s4, 4
	s_addc_u32 s13, s13, 0
.LBB11_47:                              ; =>This Inner Loop Header: Depth=1
	s_load_dwordx2 s[16:17], s[12:13], 0x0
	s_load_dword s4, s[12:13], 0x8
	s_load_dwordx2 s[18:19], s[12:13], 0xc0
	s_load_dword s15, s[12:13], 0xc8
	v_mov_b32_e32 v4, v1
	s_waitcnt lgkmcnt(0)
	v_mul_hi_u32 v1, s17, v6
	v_add_u32_e32 v1, v6, v1
	v_lshrrev_b32_e32 v1, s4, v1
	v_mul_lo_u32 v3, v1, s16
	s_add_u32 s12, s12, 12
	v_sub_u32_e32 v3, v6, v3
	s_addc_u32 s13, s13, 0
	s_add_i32 s14, s14, -1
	v_mov_b32_e32 v6, v1
	v_mad_u64_u32 v[0:1], s[16:17], v3, s18, v[0:1]
	v_mad_u64_u32 v[4:5], s[16:17], v3, s15, v[4:5]
	s_cmp_lg_u32 s14, 0
	v_mad_u64_u32 v[2:3], s[16:17], v3, s19, v[2:3]
	v_mov_b32_e32 v1, v4
	s_cbranch_scc1 .LBB11_47
.LBB11_48:
	s_cbranch_execnz .LBB11_51
.LBB11_49:
	v_mul_hi_u32 v0, s6, v8
	v_add_u32_e32 v0, v8, v0
	v_lshrrev_b32_e32 v1, s7, v0
	v_mul_lo_u32 v0, v1, s5
	v_sub_u32_e32 v2, v8, v0
	v_mul_lo_u32 v0, v2, s40
	v_mul_lo_u32 v4, v2, s42
	s_andn2_b64 vcc, exec, s[56:57]
	v_mul_lo_u32 v2, v2, s41
	s_cbranch_vccnz .LBB11_51
; %bb.50:
	v_mul_hi_u32 v3, s9, v1
	v_add_u32_e32 v3, v1, v3
	v_lshrrev_b32_e32 v3, s10, v3
	v_mul_lo_u32 v3, v3, s8
	v_sub_u32_e32 v5, v1, v3
	v_mad_u64_u32 v[0:1], s[12:13], v5, s43, v[0:1]
	v_mad_u64_u32 v[2:3], s[12:13], v5, s54, v[2:3]
	;; [unrolled: 1-line block ×3, first 2 shown]
.LBB11_51:
	s_andn2_b64 vcc, exec, s[52:53]
	s_cbranch_vccnz .LBB11_54
; %bb.52:
	s_waitcnt lgkmcnt(0)
	global_load_ushort v9, v0, s[36:37]
	v_mov_b32_e32 v1, 0
	v_mov_b32_e32 v3, v1
	;; [unrolled: 1-line block ×3, first 2 shown]
	s_ashr_i32 s31, s30, 31
	s_ashr_i32 s15, s29, 31
	s_mov_b32 s14, s29
	v_lshl_add_u64 v[6:7], s[36:37], 0, v[0:1]
	v_lshl_add_u64 v[2:3], s[38:39], 0, v[2:3]
	;; [unrolled: 1-line block ×3, first 2 shown]
	s_lshl_b64 s[12:13], s[30:31], 1
	s_lshl_b64 s[14:15], s[14:15], 1
	s_movk_i32 s4, 0x7fff
	v_mov_b32_e32 v4, 0x7fc00000
	v_mov_b32_e32 v5, 0x7fc0
	s_mov_b32 s16, s28
.LBB11_53:                              ; =>This Inner Loop Header: Depth=1
	global_load_ushort v10, v[2:3], off
	global_load_ushort v11, v[0:1], off
	s_waitcnt vmcnt(2)
	v_lshlrev_b32_e32 v9, 16, v9
	s_add_i32 s16, s16, -1
	v_lshl_add_u64 v[0:1], v[0:1], 0, s[12:13]
	v_lshl_add_u64 v[2:3], v[2:3], 0, s[14:15]
	s_cmp_lg_u32 s16, 0
	s_waitcnt vmcnt(1)
	v_lshlrev_b32_e32 v10, 16, v10
	s_waitcnt vmcnt(0)
	v_lshlrev_b32_e32 v11, 16, v11
	v_mul_f32_e32 v10, v11, v10
	v_bfe_u32 v11, v10, 16, 1
	v_add3_u32 v11, v10, v11, s4
	v_and_b32_e32 v11, 0xffff0000, v11
	v_cmp_o_f32_e32 vcc, v10, v10
	s_nop 1
	v_cndmask_b32_e32 v10, v4, v11, vcc
	v_add_f32_e32 v9, v10, v9
	v_bfe_u32 v10, v9, 16, 1
	v_cmp_o_f32_e32 vcc, v9, v9
	v_add3_u32 v9, v9, v10, s4
	s_nop 0
	v_cndmask_b32_sdwa v9, v5, v9, vcc dst_sel:DWORD dst_unused:UNUSED_PAD src0_sel:DWORD src1_sel:WORD_1
	global_store_short v[6:7], v9, off
	s_cbranch_scc1 .LBB11_53
.LBB11_54:
	v_add_u32_e32 v8, 0x100, v8
	s_or_b64 exec, exec, s[60:61]
	v_cmp_gt_i32_e32 vcc, s66, v8
	s_and_saveexec_b64 s[12:13], vcc
	s_cbranch_execz .LBB11_71
.LBB11_55:
	s_and_b64 vcc, exec, s[0:1]
	s_cbranch_vccnz .LBB11_61
; %bb.56:
	v_mov_b32_e32 v4, 0
	s_andn2_b64 vcc, exec, s[2:3]
	v_mov_b32_e32 v2, 0
	v_mov_b32_e32 v0, 0
	s_cbranch_vccnz .LBB11_65
; %bb.57:
	s_add_i32 s65, s65, 1
	s_cmp_eq_u32 s64, 2
	s_cbranch_scc1 .LBB11_62
; %bb.58:
	s_and_b32 s4, s65, 28
	v_mov_b32_e32 v0, 0
	s_mov_b32 s31, 0
	v_mov_b32_e32 v6, v8
	v_mov_b32_e32 v2, 0
	;; [unrolled: 1-line block ×3, first 2 shown]
.LBB11_59:                              ; =>This Inner Loop Header: Depth=1
	s_load_dwordx8 s[12:19], s[58:59], 0x0
	s_load_dwordx4 s[0:3], s[58:59], 0x20
	s_load_dwordx4 s[44:47], s[58:59], 0xe0
	s_load_dwordx8 s[20:27], s[58:59], 0xc0
	s_add_i32 s31, s31, 4
	s_waitcnt lgkmcnt(0)
	v_mul_hi_u32 v1, s13, v6
	v_add_u32_e32 v1, v6, v1
	v_lshrrev_b32_e32 v1, s14, v1
	v_mul_hi_u32 v5, s16, v1
	v_add_u32_e32 v5, v1, v5
	v_lshrrev_b32_e32 v5, s17, v5
	v_mul_lo_u32 v3, v1, s12
	v_mul_lo_u32 v9, v5, s15
	v_mul_hi_u32 v10, s19, v5
	v_sub_u32_e32 v3, v6, v3
	v_sub_u32_e32 v1, v1, v9
	v_add_u32_e32 v9, v5, v10
	v_mul_lo_u32 v6, v3, s20
	v_mul_lo_u32 v7, v3, s22
	v_mul_lo_u32 v3, v3, s21
	v_mul_lo_u32 v10, v1, s23
	v_mul_lo_u32 v11, v1, s25
	v_mul_lo_u32 v1, v1, s24
	v_lshrrev_b32_e32 v9, s0, v9
	v_add3_u32 v1, v3, v2, v1
	v_add3_u32 v2, v7, v4, v11
	v_mul_hi_u32 v4, s2, v9
	v_add_u32_e32 v4, v9, v4
	v_add3_u32 v0, v6, v0, v10
	v_lshrrev_b32_e32 v6, s3, v4
	v_mul_lo_u32 v3, v9, s18
	v_mul_lo_u32 v4, v6, s1
	s_add_u32 s58, s58, 48
	v_sub_u32_e32 v3, v5, v3
	v_sub_u32_e32 v4, v9, v4
	s_addc_u32 s59, s59, 0
	v_mul_lo_u32 v5, v3, s26
	v_mul_lo_u32 v7, v3, s27
	;; [unrolled: 1-line block ×6, first 2 shown]
	s_cmp_eq_u32 s4, s31
	v_add3_u32 v0, v5, v0, v9
	v_add3_u32 v4, v3, v2, v4
	;; [unrolled: 1-line block ×3, first 2 shown]
	s_cbranch_scc0 .LBB11_59
; %bb.60:
	v_mov_b32_e32 v1, v4
	s_and_b32 s2, s65, 3
	s_cmp_eq_u32 s2, 0
	s_cbranch_scc0 .LBB11_63
	s_branch .LBB11_65
.LBB11_61:
                                        ; implicit-def: $vgpr4
                                        ; implicit-def: $vgpr2
                                        ; implicit-def: $vgpr0
	s_branch .LBB11_66
.LBB11_62:
	v_mov_b32_e32 v2, 0
	s_mov_b32 s4, 0
	v_mov_b32_e32 v1, v2
                                        ; implicit-def: $vgpr4
	v_mov_b32_e32 v6, v8
	v_mov_b32_e32 v0, v2
	s_and_b32 s2, s65, 3
	s_cmp_eq_u32 s2, 0
	s_cbranch_scc1 .LBB11_65
.LBB11_63:
	s_mul_i32 s0, s4, 12
	s_add_u32 s0, s11, s0
	s_addc_u32 s1, s33, 0
	s_add_u32 s0, s0, 4
	s_addc_u32 s1, s1, 0
.LBB11_64:                              ; =>This Inner Loop Header: Depth=1
	s_load_dwordx2 s[12:13], s[0:1], 0x0
	s_load_dword s3, s[0:1], 0x8
	s_load_dwordx2 s[14:15], s[0:1], 0xc0
	s_load_dword s4, s[0:1], 0xc8
	v_mov_b32_e32 v4, v1
	s_waitcnt lgkmcnt(0)
	v_mul_hi_u32 v1, s13, v6
	v_add_u32_e32 v1, v6, v1
	v_lshrrev_b32_e32 v1, s3, v1
	v_mul_lo_u32 v3, v1, s12
	s_add_u32 s0, s0, 12
	v_sub_u32_e32 v3, v6, v3
	s_addc_u32 s1, s1, 0
	s_add_i32 s2, s2, -1
	v_mov_b32_e32 v6, v1
	v_mad_u64_u32 v[0:1], s[12:13], v3, s14, v[0:1]
	v_mad_u64_u32 v[4:5], s[12:13], v3, s4, v[4:5]
	s_cmp_lg_u32 s2, 0
	v_mad_u64_u32 v[2:3], s[12:13], v3, s15, v[2:3]
	v_mov_b32_e32 v1, v4
	s_cbranch_scc1 .LBB11_64
.LBB11_65:
	s_cbranch_execnz .LBB11_68
.LBB11_66:
	v_mul_hi_u32 v0, s6, v8
	v_add_u32_e32 v0, v8, v0
	v_lshrrev_b32_e32 v1, s7, v0
	v_mul_lo_u32 v0, v1, s5
	v_sub_u32_e32 v2, v8, v0
	v_mul_lo_u32 v0, v2, s40
	v_mul_lo_u32 v4, v2, s42
	s_andn2_b64 vcc, exec, s[56:57]
	v_mul_lo_u32 v2, v2, s41
	s_cbranch_vccnz .LBB11_68
; %bb.67:
	v_mul_hi_u32 v3, s9, v1
	v_add_u32_e32 v3, v1, v3
	v_lshrrev_b32_e32 v3, s10, v3
	v_mul_lo_u32 v3, v3, s8
	v_sub_u32_e32 v5, v1, v3
	v_mad_u64_u32 v[0:1], s[0:1], v5, s43, v[0:1]
	v_mad_u64_u32 v[2:3], s[0:1], v5, s54, v[2:3]
	;; [unrolled: 1-line block ×3, first 2 shown]
.LBB11_68:
	s_andn2_b64 vcc, exec, s[52:53]
	s_cbranch_vccnz .LBB11_71
; %bb.69:
	s_waitcnt lgkmcnt(0)
	global_load_ushort v8, v0, s[36:37]
	v_mov_b32_e32 v1, 0
	v_mov_b32_e32 v3, v1
	;; [unrolled: 1-line block ×3, first 2 shown]
	s_ashr_i32 s31, s30, 31
	s_ashr_i32 s3, s29, 31
	s_mov_b32 s2, s29
	v_lshl_add_u64 v[6:7], s[36:37], 0, v[0:1]
	v_lshl_add_u64 v[2:3], s[38:39], 0, v[2:3]
	;; [unrolled: 1-line block ×3, first 2 shown]
	s_lshl_b64 s[0:1], s[30:31], 1
	s_lshl_b64 s[2:3], s[2:3], 1
	s_movk_i32 s4, 0x7fff
	v_mov_b32_e32 v4, 0x7fc00000
	v_mov_b32_e32 v5, 0x7fc0
.LBB11_70:                              ; =>This Inner Loop Header: Depth=1
	global_load_ushort v9, v[2:3], off
	global_load_ushort v10, v[0:1], off
	s_waitcnt vmcnt(2)
	v_lshlrev_b32_e32 v8, 16, v8
	s_add_i32 s28, s28, -1
	v_lshl_add_u64 v[0:1], v[0:1], 0, s[0:1]
	v_lshl_add_u64 v[2:3], v[2:3], 0, s[2:3]
	s_cmp_lg_u32 s28, 0
	s_waitcnt vmcnt(1)
	v_lshlrev_b32_e32 v9, 16, v9
	s_waitcnt vmcnt(0)
	v_lshlrev_b32_e32 v10, 16, v10
	v_mul_f32_e32 v9, v10, v9
	v_bfe_u32 v10, v9, 16, 1
	v_add3_u32 v10, v9, v10, s4
	v_and_b32_e32 v10, 0xffff0000, v10
	v_cmp_o_f32_e32 vcc, v9, v9
	s_nop 1
	v_cndmask_b32_e32 v9, v4, v10, vcc
	v_add_f32_e32 v8, v9, v8
	v_bfe_u32 v9, v8, 16, 1
	v_cmp_o_f32_e32 vcc, v8, v8
	v_add3_u32 v8, v8, v9, s4
	s_nop 0
	v_cndmask_b32_sdwa v8, v5, v8, vcc dst_sel:DWORD dst_unused:UNUSED_PAD src0_sel:DWORD src1_sel:WORD_1
	global_store_short v[6:7], v8, off
	s_cbranch_scc1 .LBB11_70
.LBB11_71:
	s_endpgm
	.section	.rodata,"a",@progbits
	.p2align	6, 0x0
	.amdhsa_kernel _ZN2at6native12_GLOBAL__N_116_elemwise_kernelILi256ELi4EZNS1_43_compute_linear_combination_internal_kernelIN3c108BFloat16EEEvRNS_14TensorIteratorEiiiEUliE_EEviT1_
		.amdhsa_group_segment_fixed_size 0
		.amdhsa_private_segment_fixed_size 0
		.amdhsa_kernarg_size 440
		.amdhsa_user_sgpr_count 2
		.amdhsa_user_sgpr_dispatch_ptr 0
		.amdhsa_user_sgpr_queue_ptr 0
		.amdhsa_user_sgpr_kernarg_segment_ptr 1
		.amdhsa_user_sgpr_dispatch_id 0
		.amdhsa_user_sgpr_kernarg_preload_length 0
		.amdhsa_user_sgpr_kernarg_preload_offset 0
		.amdhsa_user_sgpr_private_segment_size 0
		.amdhsa_uses_dynamic_stack 0
		.amdhsa_enable_private_segment 0
		.amdhsa_system_sgpr_workgroup_id_x 1
		.amdhsa_system_sgpr_workgroup_id_y 0
		.amdhsa_system_sgpr_workgroup_id_z 0
		.amdhsa_system_sgpr_workgroup_info 0
		.amdhsa_system_vgpr_workitem_id 0
		.amdhsa_next_free_vgpr 12
		.amdhsa_next_free_sgpr 68
		.amdhsa_accum_offset 12
		.amdhsa_reserve_vcc 1
		.amdhsa_float_round_mode_32 0
		.amdhsa_float_round_mode_16_64 0
		.amdhsa_float_denorm_mode_32 3
		.amdhsa_float_denorm_mode_16_64 3
		.amdhsa_dx10_clamp 1
		.amdhsa_ieee_mode 1
		.amdhsa_fp16_overflow 0
		.amdhsa_tg_split 0
		.amdhsa_exception_fp_ieee_invalid_op 0
		.amdhsa_exception_fp_denorm_src 0
		.amdhsa_exception_fp_ieee_div_zero 0
		.amdhsa_exception_fp_ieee_overflow 0
		.amdhsa_exception_fp_ieee_underflow 0
		.amdhsa_exception_fp_ieee_inexact 0
		.amdhsa_exception_int_div_zero 0
	.end_amdhsa_kernel
	.section	.text._ZN2at6native12_GLOBAL__N_116_elemwise_kernelILi256ELi4EZNS1_43_compute_linear_combination_internal_kernelIN3c108BFloat16EEEvRNS_14TensorIteratorEiiiEUliE_EEviT1_,"axG",@progbits,_ZN2at6native12_GLOBAL__N_116_elemwise_kernelILi256ELi4EZNS1_43_compute_linear_combination_internal_kernelIN3c108BFloat16EEEvRNS_14TensorIteratorEiiiEUliE_EEviT1_,comdat
.Lfunc_end11:
	.size	_ZN2at6native12_GLOBAL__N_116_elemwise_kernelILi256ELi4EZNS1_43_compute_linear_combination_internal_kernelIN3c108BFloat16EEEvRNS_14TensorIteratorEiiiEUliE_EEviT1_, .Lfunc_end11-_ZN2at6native12_GLOBAL__N_116_elemwise_kernelILi256ELi4EZNS1_43_compute_linear_combination_internal_kernelIN3c108BFloat16EEEvRNS_14TensorIteratorEiiiEUliE_EEviT1_
                                        ; -- End function
	.set _ZN2at6native12_GLOBAL__N_116_elemwise_kernelILi256ELi4EZNS1_43_compute_linear_combination_internal_kernelIN3c108BFloat16EEEvRNS_14TensorIteratorEiiiEUliE_EEviT1_.num_vgpr, 12
	.set _ZN2at6native12_GLOBAL__N_116_elemwise_kernelILi256ELi4EZNS1_43_compute_linear_combination_internal_kernelIN3c108BFloat16EEEvRNS_14TensorIteratorEiiiEUliE_EEviT1_.num_agpr, 0
	.set _ZN2at6native12_GLOBAL__N_116_elemwise_kernelILi256ELi4EZNS1_43_compute_linear_combination_internal_kernelIN3c108BFloat16EEEvRNS_14TensorIteratorEiiiEUliE_EEviT1_.numbered_sgpr, 68
	.set _ZN2at6native12_GLOBAL__N_116_elemwise_kernelILi256ELi4EZNS1_43_compute_linear_combination_internal_kernelIN3c108BFloat16EEEvRNS_14TensorIteratorEiiiEUliE_EEviT1_.num_named_barrier, 0
	.set _ZN2at6native12_GLOBAL__N_116_elemwise_kernelILi256ELi4EZNS1_43_compute_linear_combination_internal_kernelIN3c108BFloat16EEEvRNS_14TensorIteratorEiiiEUliE_EEviT1_.private_seg_size, 0
	.set _ZN2at6native12_GLOBAL__N_116_elemwise_kernelILi256ELi4EZNS1_43_compute_linear_combination_internal_kernelIN3c108BFloat16EEEvRNS_14TensorIteratorEiiiEUliE_EEviT1_.uses_vcc, 1
	.set _ZN2at6native12_GLOBAL__N_116_elemwise_kernelILi256ELi4EZNS1_43_compute_linear_combination_internal_kernelIN3c108BFloat16EEEvRNS_14TensorIteratorEiiiEUliE_EEviT1_.uses_flat_scratch, 0
	.set _ZN2at6native12_GLOBAL__N_116_elemwise_kernelILi256ELi4EZNS1_43_compute_linear_combination_internal_kernelIN3c108BFloat16EEEvRNS_14TensorIteratorEiiiEUliE_EEviT1_.has_dyn_sized_stack, 0
	.set _ZN2at6native12_GLOBAL__N_116_elemwise_kernelILi256ELi4EZNS1_43_compute_linear_combination_internal_kernelIN3c108BFloat16EEEvRNS_14TensorIteratorEiiiEUliE_EEviT1_.has_recursion, 0
	.set _ZN2at6native12_GLOBAL__N_116_elemwise_kernelILi256ELi4EZNS1_43_compute_linear_combination_internal_kernelIN3c108BFloat16EEEvRNS_14TensorIteratorEiiiEUliE_EEviT1_.has_indirect_call, 0
	.section	.AMDGPU.csdata,"",@progbits
; Kernel info:
; codeLenInByte = 4064
; TotalNumSgprs: 74
; NumVgprs: 12
; NumAgprs: 0
; TotalNumVgprs: 12
; ScratchSize: 0
; MemoryBound: 0
; FloatMode: 240
; IeeeMode: 1
; LDSByteSize: 0 bytes/workgroup (compile time only)
; SGPRBlocks: 9
; VGPRBlocks: 1
; NumSGPRsForWavesPerEU: 74
; NumVGPRsForWavesPerEU: 12
; AccumOffset: 12
; Occupancy: 8
; WaveLimiterHint : 1
; COMPUTE_PGM_RSRC2:SCRATCH_EN: 0
; COMPUTE_PGM_RSRC2:USER_SGPR: 2
; COMPUTE_PGM_RSRC2:TRAP_HANDLER: 0
; COMPUTE_PGM_RSRC2:TGID_X_EN: 1
; COMPUTE_PGM_RSRC2:TGID_Y_EN: 0
; COMPUTE_PGM_RSRC2:TGID_Z_EN: 0
; COMPUTE_PGM_RSRC2:TIDIG_COMP_CNT: 0
; COMPUTE_PGM_RSRC3_GFX90A:ACCUM_OFFSET: 2
; COMPUTE_PGM_RSRC3_GFX90A:TG_SPLIT: 0
	.section	.AMDGPU.gpr_maximums,"",@progbits
	.set amdgpu.max_num_vgpr, 0
	.set amdgpu.max_num_agpr, 0
	.set amdgpu.max_num_sgpr, 0
	.section	.AMDGPU.csdata,"",@progbits
	.type	__hip_cuid_656f6a14c3647f2c,@object ; @__hip_cuid_656f6a14c3647f2c
	.section	.bss,"aw",@nobits
	.globl	__hip_cuid_656f6a14c3647f2c
__hip_cuid_656f6a14c3647f2c:
	.byte	0                               ; 0x0
	.size	__hip_cuid_656f6a14c3647f2c, 1

	.ident	"AMD clang version 22.0.0git (https://github.com/RadeonOpenCompute/llvm-project roc-7.2.4 26084 f58b06dce1f9c15707c5f808fd002e18c2accf7e)"
	.section	".note.GNU-stack","",@progbits
	.addrsig
	.addrsig_sym __hip_cuid_656f6a14c3647f2c
	.amdgpu_metadata
---
amdhsa.kernels:
  - .agpr_count:     0
    .args:
      - .offset:         0
        .size:           4
        .value_kind:     by_value
      - .offset:         8
        .size:           432
        .value_kind:     by_value
    .group_segment_fixed_size: 0
    .kernarg_segment_align: 8
    .kernarg_segment_size: 440
    .language:       OpenCL C
    .language_version:
      - 2
      - 0
    .max_flat_workgroup_size: 256
    .name:           _ZN2at6native12_GLOBAL__N_116_elemwise_kernelILi256ELi4EZNS1_43_compute_linear_combination_internal_kernelIhEEvRNS_14TensorIteratorEiiiEUliE_EEviT1_
    .private_segment_fixed_size: 0
    .sgpr_count:     74
    .sgpr_spill_count: 0
    .symbol:         _ZN2at6native12_GLOBAL__N_116_elemwise_kernelILi256ELi4EZNS1_43_compute_linear_combination_internal_kernelIhEEvRNS_14TensorIteratorEiiiEUliE_EEviT1_.kd
    .uniform_work_group_size: 1
    .uses_dynamic_stack: false
    .vgpr_count:     12
    .vgpr_spill_count: 0
    .wavefront_size: 64
  - .agpr_count:     0
    .args:
      - .offset:         0
        .size:           4
        .value_kind:     by_value
      - .offset:         8
        .size:           432
        .value_kind:     by_value
    .group_segment_fixed_size: 0
    .kernarg_segment_align: 8
    .kernarg_segment_size: 440
    .language:       OpenCL C
    .language_version:
      - 2
      - 0
    .max_flat_workgroup_size: 256
    .name:           _ZN2at6native12_GLOBAL__N_116_elemwise_kernelILi256ELi4EZNS1_43_compute_linear_combination_internal_kernelIaEEvRNS_14TensorIteratorEiiiEUliE_EEviT1_
    .private_segment_fixed_size: 0
    .sgpr_count:     74
    .sgpr_spill_count: 0
    .symbol:         _ZN2at6native12_GLOBAL__N_116_elemwise_kernelILi256ELi4EZNS1_43_compute_linear_combination_internal_kernelIaEEvRNS_14TensorIteratorEiiiEUliE_EEviT1_.kd
    .uniform_work_group_size: 1
    .uses_dynamic_stack: false
    .vgpr_count:     12
    .vgpr_spill_count: 0
    .wavefront_size: 64
  - .agpr_count:     0
    .args:
      - .offset:         0
        .size:           4
        .value_kind:     by_value
      - .offset:         8
        .size:           432
        .value_kind:     by_value
    .group_segment_fixed_size: 0
    .kernarg_segment_align: 8
    .kernarg_segment_size: 440
    .language:       OpenCL C
    .language_version:
      - 2
      - 0
    .max_flat_workgroup_size: 256
    .name:           _ZN2at6native12_GLOBAL__N_116_elemwise_kernelILi256ELi4EZNS1_43_compute_linear_combination_internal_kernelIiEEvRNS_14TensorIteratorEiiiEUliE_EEviT1_
    .private_segment_fixed_size: 0
    .sgpr_count:     74
    .sgpr_spill_count: 0
    .symbol:         _ZN2at6native12_GLOBAL__N_116_elemwise_kernelILi256ELi4EZNS1_43_compute_linear_combination_internal_kernelIiEEvRNS_14TensorIteratorEiiiEUliE_EEviT1_.kd
    .uniform_work_group_size: 1
    .uses_dynamic_stack: false
    .vgpr_count:     12
    .vgpr_spill_count: 0
    .wavefront_size: 64
  - .agpr_count:     0
    .args:
      - .offset:         0
        .size:           4
        .value_kind:     by_value
      - .offset:         8
        .size:           432
        .value_kind:     by_value
    .group_segment_fixed_size: 0
    .kernarg_segment_align: 8
    .kernarg_segment_size: 440
    .language:       OpenCL C
    .language_version:
      - 2
      - 0
    .max_flat_workgroup_size: 256
    .name:           _ZN2at6native12_GLOBAL__N_116_elemwise_kernelILi256ELi4EZNS1_43_compute_linear_combination_internal_kernelIlEEvRNS_14TensorIteratorEiiiEUliE_EEviT1_
    .private_segment_fixed_size: 0
    .sgpr_count:     74
    .sgpr_spill_count: 0
    .symbol:         _ZN2at6native12_GLOBAL__N_116_elemwise_kernelILi256ELi4EZNS1_43_compute_linear_combination_internal_kernelIlEEvRNS_14TensorIteratorEiiiEUliE_EEviT1_.kd
    .uniform_work_group_size: 1
    .uses_dynamic_stack: false
    .vgpr_count:     14
    .vgpr_spill_count: 0
    .wavefront_size: 64
  - .agpr_count:     0
    .args:
      - .offset:         0
        .size:           4
        .value_kind:     by_value
      - .offset:         8
        .size:           432
        .value_kind:     by_value
    .group_segment_fixed_size: 0
    .kernarg_segment_align: 8
    .kernarg_segment_size: 440
    .language:       OpenCL C
    .language_version:
      - 2
      - 0
    .max_flat_workgroup_size: 256
    .name:           _ZN2at6native12_GLOBAL__N_116_elemwise_kernelILi256ELi4EZNS1_43_compute_linear_combination_internal_kernelIsEEvRNS_14TensorIteratorEiiiEUliE_EEviT1_
    .private_segment_fixed_size: 0
    .sgpr_count:     74
    .sgpr_spill_count: 0
    .symbol:         _ZN2at6native12_GLOBAL__N_116_elemwise_kernelILi256ELi4EZNS1_43_compute_linear_combination_internal_kernelIsEEvRNS_14TensorIteratorEiiiEUliE_EEviT1_.kd
    .uniform_work_group_size: 1
    .uses_dynamic_stack: false
    .vgpr_count:     12
    .vgpr_spill_count: 0
    .wavefront_size: 64
  - .agpr_count:     0
    .args:
      - .offset:         0
        .size:           4
        .value_kind:     by_value
      - .offset:         8
        .size:           432
        .value_kind:     by_value
    .group_segment_fixed_size: 0
    .kernarg_segment_align: 8
    .kernarg_segment_size: 440
    .language:       OpenCL C
    .language_version:
      - 2
      - 0
    .max_flat_workgroup_size: 256
    .name:           _ZN2at6native12_GLOBAL__N_116_elemwise_kernelILi256ELi4EZNS1_43_compute_linear_combination_internal_kernelIdEEvRNS_14TensorIteratorEiiiEUliE_EEviT1_
    .private_segment_fixed_size: 0
    .sgpr_count:     74
    .sgpr_spill_count: 0
    .symbol:         _ZN2at6native12_GLOBAL__N_116_elemwise_kernelILi256ELi4EZNS1_43_compute_linear_combination_internal_kernelIdEEvRNS_14TensorIteratorEiiiEUliE_EEviT1_.kd
    .uniform_work_group_size: 1
    .uses_dynamic_stack: false
    .vgpr_count:     14
    .vgpr_spill_count: 0
    .wavefront_size: 64
  - .agpr_count:     0
    .args:
      - .offset:         0
        .size:           4
        .value_kind:     by_value
      - .offset:         8
        .size:           432
        .value_kind:     by_value
    .group_segment_fixed_size: 0
    .kernarg_segment_align: 8
    .kernarg_segment_size: 440
    .language:       OpenCL C
    .language_version:
      - 2
      - 0
    .max_flat_workgroup_size: 256
    .name:           _ZN2at6native12_GLOBAL__N_116_elemwise_kernelILi256ELi4EZNS1_43_compute_linear_combination_internal_kernelIfEEvRNS_14TensorIteratorEiiiEUliE_EEviT1_
    .private_segment_fixed_size: 0
    .sgpr_count:     74
    .sgpr_spill_count: 0
    .symbol:         _ZN2at6native12_GLOBAL__N_116_elemwise_kernelILi256ELi4EZNS1_43_compute_linear_combination_internal_kernelIfEEvRNS_14TensorIteratorEiiiEUliE_EEviT1_.kd
    .uniform_work_group_size: 1
    .uses_dynamic_stack: false
    .vgpr_count:     12
    .vgpr_spill_count: 0
    .wavefront_size: 64
  - .agpr_count:     0
    .args:
      - .offset:         0
        .size:           4
        .value_kind:     by_value
      - .offset:         8
        .size:           432
        .value_kind:     by_value
    .group_segment_fixed_size: 0
    .kernarg_segment_align: 8
    .kernarg_segment_size: 440
    .language:       OpenCL C
    .language_version:
      - 2
      - 0
    .max_flat_workgroup_size: 256
    .name:           _ZN2at6native12_GLOBAL__N_116_elemwise_kernelILi256ELi4EZNS1_43_compute_linear_combination_internal_kernelIN3c107complexIdEEEEvRNS_14TensorIteratorEiiiEUliE_EEviT1_
    .private_segment_fixed_size: 0
    .sgpr_count:     74
    .sgpr_spill_count: 0
    .symbol:         _ZN2at6native12_GLOBAL__N_116_elemwise_kernelILi256ELi4EZNS1_43_compute_linear_combination_internal_kernelIN3c107complexIdEEEEvRNS_14TensorIteratorEiiiEUliE_EEviT1_.kd
    .uniform_work_group_size: 1
    .uses_dynamic_stack: false
    .vgpr_count:     18
    .vgpr_spill_count: 0
    .wavefront_size: 64
  - .agpr_count:     0
    .args:
      - .offset:         0
        .size:           4
        .value_kind:     by_value
      - .offset:         8
        .size:           432
        .value_kind:     by_value
    .group_segment_fixed_size: 0
    .kernarg_segment_align: 8
    .kernarg_segment_size: 440
    .language:       OpenCL C
    .language_version:
      - 2
      - 0
    .max_flat_workgroup_size: 256
    .name:           _ZN2at6native12_GLOBAL__N_116_elemwise_kernelILi256ELi4EZNS1_43_compute_linear_combination_internal_kernelIN3c107complexIfEEEEvRNS_14TensorIteratorEiiiEUliE_EEviT1_
    .private_segment_fixed_size: 0
    .sgpr_count:     74
    .sgpr_spill_count: 0
    .symbol:         _ZN2at6native12_GLOBAL__N_116_elemwise_kernelILi256ELi4EZNS1_43_compute_linear_combination_internal_kernelIN3c107complexIfEEEEvRNS_14TensorIteratorEiiiEUliE_EEviT1_.kd
    .uniform_work_group_size: 1
    .uses_dynamic_stack: false
    .vgpr_count:     14
    .vgpr_spill_count: 0
    .wavefront_size: 64
  - .agpr_count:     0
    .args:
      - .offset:         0
        .size:           4
        .value_kind:     by_value
      - .offset:         8
        .size:           432
        .value_kind:     by_value
    .group_segment_fixed_size: 0
    .kernarg_segment_align: 8
    .kernarg_segment_size: 440
    .language:       OpenCL C
    .language_version:
      - 2
      - 0
    .max_flat_workgroup_size: 256
    .name:           _ZN2at6native12_GLOBAL__N_116_elemwise_kernelILi256ELi4EZNS1_43_compute_linear_combination_internal_kernelIN3c104HalfEEEvRNS_14TensorIteratorEiiiEUliE_EEviT1_
    .private_segment_fixed_size: 0
    .sgpr_count:     74
    .sgpr_spill_count: 0
    .symbol:         _ZN2at6native12_GLOBAL__N_116_elemwise_kernelILi256ELi4EZNS1_43_compute_linear_combination_internal_kernelIN3c104HalfEEEvRNS_14TensorIteratorEiiiEUliE_EEviT1_.kd
    .uniform_work_group_size: 1
    .uses_dynamic_stack: false
    .vgpr_count:     12
    .vgpr_spill_count: 0
    .wavefront_size: 64
  - .agpr_count:     0
    .args:
      - .offset:         0
        .size:           4
        .value_kind:     by_value
      - .offset:         8
        .size:           432
        .value_kind:     by_value
    .group_segment_fixed_size: 0
    .kernarg_segment_align: 8
    .kernarg_segment_size: 440
    .language:       OpenCL C
    .language_version:
      - 2
      - 0
    .max_flat_workgroup_size: 256
    .name:           _ZN2at6native12_GLOBAL__N_116_elemwise_kernelILi256ELi4EZNS1_43_compute_linear_combination_internal_kernelIbEEvRNS_14TensorIteratorEiiiEUliE_EEviT1_
    .private_segment_fixed_size: 0
    .sgpr_count:     74
    .sgpr_spill_count: 0
    .symbol:         _ZN2at6native12_GLOBAL__N_116_elemwise_kernelILi256ELi4EZNS1_43_compute_linear_combination_internal_kernelIbEEvRNS_14TensorIteratorEiiiEUliE_EEviT1_.kd
    .uniform_work_group_size: 1
    .uses_dynamic_stack: false
    .vgpr_count:     12
    .vgpr_spill_count: 0
    .wavefront_size: 64
  - .agpr_count:     0
    .args:
      - .offset:         0
        .size:           4
        .value_kind:     by_value
      - .offset:         8
        .size:           432
        .value_kind:     by_value
    .group_segment_fixed_size: 0
    .kernarg_segment_align: 8
    .kernarg_segment_size: 440
    .language:       OpenCL C
    .language_version:
      - 2
      - 0
    .max_flat_workgroup_size: 256
    .name:           _ZN2at6native12_GLOBAL__N_116_elemwise_kernelILi256ELi4EZNS1_43_compute_linear_combination_internal_kernelIN3c108BFloat16EEEvRNS_14TensorIteratorEiiiEUliE_EEviT1_
    .private_segment_fixed_size: 0
    .sgpr_count:     74
    .sgpr_spill_count: 0
    .symbol:         _ZN2at6native12_GLOBAL__N_116_elemwise_kernelILi256ELi4EZNS1_43_compute_linear_combination_internal_kernelIN3c108BFloat16EEEvRNS_14TensorIteratorEiiiEUliE_EEviT1_.kd
    .uniform_work_group_size: 1
    .uses_dynamic_stack: false
    .vgpr_count:     12
    .vgpr_spill_count: 0
    .wavefront_size: 64
amdhsa.target:   amdgcn-amd-amdhsa--gfx950
amdhsa.version:
  - 1
  - 2
...

	.end_amdgpu_metadata
